;; amdgpu-corpus repo=ROCm/rocFFT kind=compiled arch=gfx1201 opt=O3
	.text
	.amdgcn_target "amdgcn-amd-amdhsa--gfx1201"
	.amdhsa_code_object_version 6
	.protected	fft_rtc_fwd_len2250_factors_10_3_5_3_5_wgs_90_tpt_90_halfLds_dp_ip_CI_unitstride_sbrr_R2C_dirReg ; -- Begin function fft_rtc_fwd_len2250_factors_10_3_5_3_5_wgs_90_tpt_90_halfLds_dp_ip_CI_unitstride_sbrr_R2C_dirReg
	.globl	fft_rtc_fwd_len2250_factors_10_3_5_3_5_wgs_90_tpt_90_halfLds_dp_ip_CI_unitstride_sbrr_R2C_dirReg
	.p2align	8
	.type	fft_rtc_fwd_len2250_factors_10_3_5_3_5_wgs_90_tpt_90_halfLds_dp_ip_CI_unitstride_sbrr_R2C_dirReg,@function
fft_rtc_fwd_len2250_factors_10_3_5_3_5_wgs_90_tpt_90_halfLds_dp_ip_CI_unitstride_sbrr_R2C_dirReg: ; @fft_rtc_fwd_len2250_factors_10_3_5_3_5_wgs_90_tpt_90_halfLds_dp_ip_CI_unitstride_sbrr_R2C_dirReg
; %bb.0:
	s_clause 0x2
	s_load_b128 s[4:7], s[0:1], 0x0
	s_load_b64 s[8:9], s[0:1], 0x50
	s_load_b64 s[10:11], s[0:1], 0x18
	v_mul_u32_u24_e32 v1, 0x2d9, v0
	v_mov_b32_e32 v3, 0
	s_delay_alu instid0(VALU_DEP_2) | instskip(NEXT) | instid1(VALU_DEP_1)
	v_lshrrev_b32_e32 v1, 16, v1
	v_add_nc_u32_e32 v5, ttmp9, v1
	v_mov_b32_e32 v1, 0
	v_mov_b32_e32 v2, 0
	;; [unrolled: 1-line block ×3, first 2 shown]
	s_wait_kmcnt 0x0
	v_cmp_lt_u64_e64 s2, s[6:7], 2
	s_delay_alu instid0(VALU_DEP_1)
	s_and_b32 vcc_lo, exec_lo, s2
	s_cbranch_vccnz .LBB0_8
; %bb.1:
	s_load_b64 s[2:3], s[0:1], 0x10
	v_mov_b32_e32 v1, 0
	v_mov_b32_e32 v2, 0
	s_add_nc_u64 s[12:13], s[10:11], 8
	s_mov_b64 s[14:15], 1
	s_wait_kmcnt 0x0
	s_add_nc_u64 s[16:17], s[2:3], 8
	s_mov_b32 s3, 0
.LBB0_2:                                ; =>This Inner Loop Header: Depth=1
	s_load_b64 s[18:19], s[16:17], 0x0
                                        ; implicit-def: $vgpr7_vgpr8
	s_mov_b32 s2, exec_lo
	s_wait_kmcnt 0x0
	v_or_b32_e32 v4, s19, v6
	s_delay_alu instid0(VALU_DEP_1)
	v_cmpx_ne_u64_e32 0, v[3:4]
	s_wait_alu 0xfffe
	s_xor_b32 s20, exec_lo, s2
	s_cbranch_execz .LBB0_4
; %bb.3:                                ;   in Loop: Header=BB0_2 Depth=1
	s_cvt_f32_u32 s2, s18
	s_cvt_f32_u32 s21, s19
	s_sub_nc_u64 s[24:25], 0, s[18:19]
	s_wait_alu 0xfffe
	s_delay_alu instid0(SALU_CYCLE_1) | instskip(SKIP_1) | instid1(SALU_CYCLE_2)
	s_fmamk_f32 s2, s21, 0x4f800000, s2
	s_wait_alu 0xfffe
	v_s_rcp_f32 s2, s2
	s_delay_alu instid0(TRANS32_DEP_1) | instskip(SKIP_1) | instid1(SALU_CYCLE_2)
	s_mul_f32 s2, s2, 0x5f7ffffc
	s_wait_alu 0xfffe
	s_mul_f32 s21, s2, 0x2f800000
	s_wait_alu 0xfffe
	s_delay_alu instid0(SALU_CYCLE_2) | instskip(SKIP_1) | instid1(SALU_CYCLE_2)
	s_trunc_f32 s21, s21
	s_wait_alu 0xfffe
	s_fmamk_f32 s2, s21, 0xcf800000, s2
	s_cvt_u32_f32 s23, s21
	s_wait_alu 0xfffe
	s_delay_alu instid0(SALU_CYCLE_1) | instskip(SKIP_1) | instid1(SALU_CYCLE_2)
	s_cvt_u32_f32 s22, s2
	s_wait_alu 0xfffe
	s_mul_u64 s[26:27], s[24:25], s[22:23]
	s_wait_alu 0xfffe
	s_mul_hi_u32 s29, s22, s27
	s_mul_i32 s28, s22, s27
	s_mul_hi_u32 s2, s22, s26
	s_mul_i32 s30, s23, s26
	s_wait_alu 0xfffe
	s_add_nc_u64 s[28:29], s[2:3], s[28:29]
	s_mul_hi_u32 s21, s23, s26
	s_mul_hi_u32 s31, s23, s27
	s_add_co_u32 s2, s28, s30
	s_wait_alu 0xfffe
	s_add_co_ci_u32 s2, s29, s21
	s_mul_i32 s26, s23, s27
	s_add_co_ci_u32 s27, s31, 0
	s_wait_alu 0xfffe
	s_add_nc_u64 s[26:27], s[2:3], s[26:27]
	s_wait_alu 0xfffe
	v_add_co_u32 v4, s2, s22, s26
	s_delay_alu instid0(VALU_DEP_1) | instskip(SKIP_1) | instid1(VALU_DEP_1)
	s_cmp_lg_u32 s2, 0
	s_add_co_ci_u32 s23, s23, s27
	v_readfirstlane_b32 s22, v4
	s_wait_alu 0xfffe
	s_delay_alu instid0(VALU_DEP_1)
	s_mul_u64 s[24:25], s[24:25], s[22:23]
	s_wait_alu 0xfffe
	s_mul_hi_u32 s27, s22, s25
	s_mul_i32 s26, s22, s25
	s_mul_hi_u32 s2, s22, s24
	s_mul_i32 s28, s23, s24
	s_wait_alu 0xfffe
	s_add_nc_u64 s[26:27], s[2:3], s[26:27]
	s_mul_hi_u32 s21, s23, s24
	s_mul_hi_u32 s22, s23, s25
	s_wait_alu 0xfffe
	s_add_co_u32 s2, s26, s28
	s_add_co_ci_u32 s2, s27, s21
	s_mul_i32 s24, s23, s25
	s_add_co_ci_u32 s25, s22, 0
	s_wait_alu 0xfffe
	s_add_nc_u64 s[24:25], s[2:3], s[24:25]
	s_wait_alu 0xfffe
	v_add_co_u32 v4, s2, v4, s24
	s_delay_alu instid0(VALU_DEP_1) | instskip(SKIP_1) | instid1(VALU_DEP_1)
	s_cmp_lg_u32 s2, 0
	s_add_co_ci_u32 s2, s23, s25
	v_mul_hi_u32 v13, v5, v4
	s_wait_alu 0xfffe
	v_mad_co_u64_u32 v[7:8], null, v5, s2, 0
	v_mad_co_u64_u32 v[9:10], null, v6, v4, 0
	;; [unrolled: 1-line block ×3, first 2 shown]
	s_delay_alu instid0(VALU_DEP_3) | instskip(SKIP_1) | instid1(VALU_DEP_4)
	v_add_co_u32 v4, vcc_lo, v13, v7
	s_wait_alu 0xfffd
	v_add_co_ci_u32_e32 v7, vcc_lo, 0, v8, vcc_lo
	s_delay_alu instid0(VALU_DEP_2) | instskip(SKIP_1) | instid1(VALU_DEP_2)
	v_add_co_u32 v4, vcc_lo, v4, v9
	s_wait_alu 0xfffd
	v_add_co_ci_u32_e32 v4, vcc_lo, v7, v10, vcc_lo
	s_wait_alu 0xfffd
	v_add_co_ci_u32_e32 v7, vcc_lo, 0, v12, vcc_lo
	s_delay_alu instid0(VALU_DEP_2) | instskip(SKIP_1) | instid1(VALU_DEP_2)
	v_add_co_u32 v4, vcc_lo, v4, v11
	s_wait_alu 0xfffd
	v_add_co_ci_u32_e32 v9, vcc_lo, 0, v7, vcc_lo
	s_delay_alu instid0(VALU_DEP_2) | instskip(SKIP_1) | instid1(VALU_DEP_3)
	v_mul_lo_u32 v10, s19, v4
	v_mad_co_u64_u32 v[7:8], null, s18, v4, 0
	v_mul_lo_u32 v11, s18, v9
	s_delay_alu instid0(VALU_DEP_2) | instskip(NEXT) | instid1(VALU_DEP_2)
	v_sub_co_u32 v7, vcc_lo, v5, v7
	v_add3_u32 v8, v8, v11, v10
	s_delay_alu instid0(VALU_DEP_1) | instskip(SKIP_1) | instid1(VALU_DEP_1)
	v_sub_nc_u32_e32 v10, v6, v8
	s_wait_alu 0xfffd
	v_subrev_co_ci_u32_e64 v10, s2, s19, v10, vcc_lo
	v_add_co_u32 v11, s2, v4, 2
	s_wait_alu 0xf1ff
	v_add_co_ci_u32_e64 v12, s2, 0, v9, s2
	v_sub_co_u32 v13, s2, v7, s18
	v_sub_co_ci_u32_e32 v8, vcc_lo, v6, v8, vcc_lo
	s_wait_alu 0xf1ff
	v_subrev_co_ci_u32_e64 v10, s2, 0, v10, s2
	s_delay_alu instid0(VALU_DEP_3) | instskip(NEXT) | instid1(VALU_DEP_3)
	v_cmp_le_u32_e32 vcc_lo, s18, v13
	v_cmp_eq_u32_e64 s2, s19, v8
	s_wait_alu 0xfffd
	v_cndmask_b32_e64 v13, 0, -1, vcc_lo
	v_cmp_le_u32_e32 vcc_lo, s19, v10
	s_wait_alu 0xfffd
	v_cndmask_b32_e64 v14, 0, -1, vcc_lo
	v_cmp_le_u32_e32 vcc_lo, s18, v7
	;; [unrolled: 3-line block ×3, first 2 shown]
	s_wait_alu 0xfffd
	v_cndmask_b32_e64 v15, 0, -1, vcc_lo
	v_cmp_eq_u32_e32 vcc_lo, s19, v10
	s_wait_alu 0xf1ff
	s_delay_alu instid0(VALU_DEP_2)
	v_cndmask_b32_e64 v7, v15, v7, s2
	s_wait_alu 0xfffd
	v_cndmask_b32_e32 v10, v14, v13, vcc_lo
	v_add_co_u32 v13, vcc_lo, v4, 1
	s_wait_alu 0xfffd
	v_add_co_ci_u32_e32 v14, vcc_lo, 0, v9, vcc_lo
	s_delay_alu instid0(VALU_DEP_3) | instskip(SKIP_2) | instid1(VALU_DEP_3)
	v_cmp_ne_u32_e32 vcc_lo, 0, v10
	s_wait_alu 0xfffd
	v_cndmask_b32_e32 v10, v13, v11, vcc_lo
	v_cndmask_b32_e32 v8, v14, v12, vcc_lo
	v_cmp_ne_u32_e32 vcc_lo, 0, v7
	s_wait_alu 0xfffd
	s_delay_alu instid0(VALU_DEP_2)
	v_dual_cndmask_b32 v7, v4, v10 :: v_dual_cndmask_b32 v8, v9, v8
.LBB0_4:                                ;   in Loop: Header=BB0_2 Depth=1
	s_wait_alu 0xfffe
	s_and_not1_saveexec_b32 s2, s20
	s_cbranch_execz .LBB0_6
; %bb.5:                                ;   in Loop: Header=BB0_2 Depth=1
	v_cvt_f32_u32_e32 v4, s18
	s_sub_co_i32 s20, 0, s18
	s_delay_alu instid0(VALU_DEP_1) | instskip(NEXT) | instid1(TRANS32_DEP_1)
	v_rcp_iflag_f32_e32 v4, v4
	v_mul_f32_e32 v4, 0x4f7ffffe, v4
	s_delay_alu instid0(VALU_DEP_1) | instskip(SKIP_1) | instid1(VALU_DEP_1)
	v_cvt_u32_f32_e32 v4, v4
	s_wait_alu 0xfffe
	v_mul_lo_u32 v7, s20, v4
	s_delay_alu instid0(VALU_DEP_1) | instskip(NEXT) | instid1(VALU_DEP_1)
	v_mul_hi_u32 v7, v4, v7
	v_add_nc_u32_e32 v4, v4, v7
	s_delay_alu instid0(VALU_DEP_1) | instskip(NEXT) | instid1(VALU_DEP_1)
	v_mul_hi_u32 v4, v5, v4
	v_mul_lo_u32 v7, v4, s18
	v_add_nc_u32_e32 v8, 1, v4
	s_delay_alu instid0(VALU_DEP_2) | instskip(NEXT) | instid1(VALU_DEP_1)
	v_sub_nc_u32_e32 v7, v5, v7
	v_subrev_nc_u32_e32 v9, s18, v7
	v_cmp_le_u32_e32 vcc_lo, s18, v7
	s_wait_alu 0xfffd
	s_delay_alu instid0(VALU_DEP_2) | instskip(NEXT) | instid1(VALU_DEP_1)
	v_dual_cndmask_b32 v7, v7, v9 :: v_dual_cndmask_b32 v4, v4, v8
	v_cmp_le_u32_e32 vcc_lo, s18, v7
	s_delay_alu instid0(VALU_DEP_2) | instskip(SKIP_1) | instid1(VALU_DEP_1)
	v_add_nc_u32_e32 v8, 1, v4
	s_wait_alu 0xfffd
	v_dual_cndmask_b32 v7, v4, v8 :: v_dual_mov_b32 v8, v3
.LBB0_6:                                ;   in Loop: Header=BB0_2 Depth=1
	s_wait_alu 0xfffe
	s_or_b32 exec_lo, exec_lo, s2
	s_load_b64 s[20:21], s[12:13], 0x0
	s_delay_alu instid0(VALU_DEP_1)
	v_mul_lo_u32 v4, v8, s18
	v_mul_lo_u32 v11, v7, s19
	v_mad_co_u64_u32 v[9:10], null, v7, s18, 0
	s_add_nc_u64 s[14:15], s[14:15], 1
	s_add_nc_u64 s[12:13], s[12:13], 8
	s_wait_alu 0xfffe
	v_cmp_ge_u64_e64 s2, s[14:15], s[6:7]
	s_add_nc_u64 s[16:17], s[16:17], 8
	s_delay_alu instid0(VALU_DEP_2) | instskip(NEXT) | instid1(VALU_DEP_3)
	v_add3_u32 v4, v10, v11, v4
	v_sub_co_u32 v5, vcc_lo, v5, v9
	s_wait_alu 0xfffd
	s_delay_alu instid0(VALU_DEP_2) | instskip(SKIP_3) | instid1(VALU_DEP_2)
	v_sub_co_ci_u32_e32 v4, vcc_lo, v6, v4, vcc_lo
	s_and_b32 vcc_lo, exec_lo, s2
	s_wait_kmcnt 0x0
	v_mul_lo_u32 v6, s21, v5
	v_mul_lo_u32 v4, s20, v4
	v_mad_co_u64_u32 v[1:2], null, s20, v5, v[1:2]
	s_delay_alu instid0(VALU_DEP_1)
	v_add3_u32 v2, v6, v2, v4
	s_wait_alu 0xfffe
	s_cbranch_vccnz .LBB0_9
; %bb.7:                                ;   in Loop: Header=BB0_2 Depth=1
	v_dual_mov_b32 v5, v7 :: v_dual_mov_b32 v6, v8
	s_branch .LBB0_2
.LBB0_8:
	v_dual_mov_b32 v8, v6 :: v_dual_mov_b32 v7, v5
.LBB0_9:
	s_lshl_b64 s[2:3], s[6:7], 3
	v_mul_hi_u32 v3, 0x2d82d83, v0
	s_wait_alu 0xfffe
	s_add_nc_u64 s[2:3], s[10:11], s[2:3]
	s_load_b64 s[2:3], s[2:3], 0x0
	s_load_b64 s[0:1], s[0:1], 0x20
	s_delay_alu instid0(VALU_DEP_1) | instskip(NEXT) | instid1(VALU_DEP_1)
	v_mul_u32_u24_e32 v3, 0x5a, v3
	v_sub_nc_u32_e32 v152, v0, v3
	s_delay_alu instid0(VALU_DEP_1)
	v_add_nc_u32_e32 v157, 0x5a, v152
	v_add_nc_u32_e32 v156, 0xb4, v152
	s_wait_kmcnt 0x0
	v_mul_lo_u32 v4, s2, v8
	v_mul_lo_u32 v5, s3, v7
	v_mad_co_u64_u32 v[1:2], null, s2, v7, v[1:2]
	v_cmp_gt_u64_e32 vcc_lo, s[0:1], v[7:8]
	v_cmp_le_u64_e64 s0, s[0:1], v[7:8]
	s_delay_alu instid0(VALU_DEP_3) | instskip(NEXT) | instid1(VALU_DEP_2)
	v_add3_u32 v2, v5, v2, v4
	s_and_saveexec_b32 s1, s0
	s_wait_alu 0xfffe
	s_xor_b32 s0, exec_lo, s1
; %bb.10:
	v_add_nc_u32_e32 v157, 0x5a, v152
	v_add_nc_u32_e32 v156, 0xb4, v152
; %bb.11:
	s_wait_alu 0xfffe
	s_or_saveexec_b32 s1, s0
	v_lshlrev_b64_e32 v[154:155], 4, v[1:2]
	v_lshl_add_u32 v159, v152, 4, 0
	s_wait_alu 0xfffe
	s_xor_b32 exec_lo, exec_lo, s1
	s_cbranch_execz .LBB0_13
; %bb.12:
	v_mov_b32_e32 v153, 0
	v_add_co_u32 v2, s0, s8, v154
	s_wait_alu 0xf1ff
	v_add_co_ci_u32_e64 v3, s0, s9, v155, s0
	s_delay_alu instid0(VALU_DEP_3) | instskip(NEXT) | instid1(VALU_DEP_1)
	v_lshlrev_b64_e32 v[0:1], 4, v[152:153]
	v_add_co_u32 v96, s0, v2, v0
	s_wait_alu 0xf1ff
	s_delay_alu instid0(VALU_DEP_2)
	v_add_co_ci_u32_e64 v97, s0, v3, v1, s0
	s_clause 0x18
	global_load_b128 v[0:3], v[96:97], off
	global_load_b128 v[4:7], v[96:97], off offset:1440
	global_load_b128 v[8:11], v[96:97], off offset:2880
	;; [unrolled: 1-line block ×24, first 2 shown]
	s_wait_loadcnt 0x18
	ds_store_b128 v159, v[0:3]
	s_wait_loadcnt 0x17
	ds_store_b128 v159, v[4:7] offset:1440
	s_wait_loadcnt 0x16
	ds_store_b128 v159, v[8:11] offset:2880
	;; [unrolled: 2-line block ×24, first 2 shown]
.LBB0_13:
	s_or_b32 exec_lo, exec_lo, s1
	global_wb scope:SCOPE_SE
	s_wait_dscnt 0x0
	s_barrier_signal -1
	s_barrier_wait -1
	global_inv scope:SCOPE_SE
	ds_load_b128 v[80:83], v159 offset:18000
	ds_load_b128 v[56:59], v159 offset:25200
	;; [unrolled: 1-line block ×4, first 2 shown]
	ds_load_b128 v[84:87], v159
	ds_load_b128 v[4:7], v159 offset:1440
	ds_load_b128 v[94:97], v159 offset:7200
	;; [unrolled: 1-line block ×25, first 2 shown]
	s_mov_b32 s2, 0x134454ff
	s_mov_b32 s3, 0x3fee6f0e
	;; [unrolled: 1-line block ×3, first 2 shown]
	s_wait_alu 0xfffe
	s_mov_b32 s10, s2
	s_mov_b32 s12, 0x4755a5e
	;; [unrolled: 1-line block ×3, first 2 shown]
	s_wait_dscnt 0x1c
	v_add_f64_e32 v[88:89], v[80:81], v[56:57]
	v_add_f64_e64 v[120:121], v[82:83], -v[58:59]
	s_wait_dscnt 0x1a
	v_add_f64_e32 v[102:103], v[92:93], v[2:3]
	v_add_f64_e32 v[104:105], v[90:91], v[0:1]
	v_add_f64_e32 v[106:107], v[82:83], v[58:59]
	v_add_f64_e64 v[134:135], v[92:93], -v[2:3]
	v_add_f64_e64 v[122:123], v[80:81], -v[56:57]
	s_wait_dscnt 0x17
	v_add_f64_e32 v[132:133], v[84:85], v[94:95]
	v_add_f64_e32 v[150:151], v[86:87], v[96:97]
	s_wait_dscnt 0xd
	v_add_f64_e32 v[164:165], v[98:99], v[90:91]
	v_add_f64_e32 v[170:171], v[138:139], v[64:65]
	;; [unrolled: 3-line block ×3, first 2 shown]
	v_add_f64_e32 v[184:185], v[96:97], v[54:55]
	v_add_f64_e32 v[186:187], v[100:101], v[92:93]
	v_add_f64_e64 v[188:189], v[90:91], -v[80:81]
	v_add_f64_e64 v[190:191], v[80:81], -v[90:91]
	;; [unrolled: 1-line block ×6, first 2 shown]
	v_add_f64_e32 v[202:203], v[4:5], v[110:111]
	v_add_f64_e32 v[204:205], v[6:7], v[112:113]
	s_wait_dscnt 0x7
	v_add_f64_e32 v[208:209], v[68:69], v[146:147]
	v_add_f64_e32 v[210:211], v[70:71], v[148:149]
	v_add_f64_e64 v[212:213], v[58:59], -v[2:3]
	s_mov_b32 s15, 0xbfe2cf23
	s_mov_b32 s14, s12
	v_add_f64_e64 v[118:119], v[96:97], -v[54:55]
	v_add_f64_e64 v[172:173], v[94:95], -v[138:139]
	;; [unrolled: 1-line block ×9, first 2 shown]
	v_add_f64_e32 v[214:215], v[142:143], v[60:61]
	v_fma_f64 v[136:137], v[88:89], -0.5, v[98:99]
	v_add_f64_e64 v[88:89], v[138:139], -v[64:65]
	v_fma_f64 v[166:167], v[102:103], -0.5, v[100:101]
	v_fma_f64 v[168:169], v[104:105], -0.5, v[98:99]
	;; [unrolled: 1-line block ×3, first 2 shown]
	v_add_f64_e64 v[98:99], v[140:141], -v[66:67]
	v_add_f64_e64 v[104:105], v[94:95], -v[52:53]
	;; [unrolled: 1-line block ×5, first 2 shown]
	v_add_f64_e32 v[224:225], v[144:145], v[62:63]
	v_add_f64_e64 v[96:97], v[142:143], -v[60:61]
	v_add_f64_e64 v[108:109], v[112:113], -v[144:145]
	;; [unrolled: 1-line block ×3, first 2 shown]
	s_wait_dscnt 0x3
	v_add_f64_e32 v[230:231], v[160:161], v[76:77]
	v_add_f64_e32 v[138:139], v[132:133], v[138:139]
	;; [unrolled: 1-line block ×3, first 2 shown]
	v_add_f64_e64 v[232:233], v[146:147], -v[160:161]
	v_add_f64_e64 v[234:235], v[160:161], -v[146:147]
	s_wait_dscnt 0x1
	v_add_f64_e32 v[236:237], v[148:149], v[74:75]
	v_add_f64_e32 v[238:239], v[146:147], v[72:73]
	;; [unrolled: 1-line block ×5, first 2 shown]
	v_add_f64_e64 v[80:81], v[160:161], -v[76:77]
	v_add_f64_e32 v[142:143], v[202:203], v[142:143]
	v_add_f64_e32 v[144:145], v[204:205], v[144:145]
	v_add_f64_e32 v[160:161], v[208:209], v[160:161]
	v_add_f64_e32 v[204:205], v[210:211], v[162:163]
	v_fma_f64 v[170:171], v[170:171], -0.5, v[84:85]
	v_fma_f64 v[82:83], v[178:179], -0.5, v[86:87]
	v_add_f64_e32 v[132:133], v[188:189], v[198:199]
	v_add_f64_e32 v[178:179], v[190:191], v[200:201]
	;; [unrolled: 1-line block ×3, first 2 shown]
	v_fma_f64 v[84:85], v[176:177], -0.5, v[84:85]
	v_fma_f64 v[86:87], v[184:185], -0.5, v[86:87]
	v_add_f64_e32 v[176:177], v[44:45], v[40:41]
	v_add_f64_e32 v[184:185], v[46:47], v[42:43]
	v_fma_f64 v[218:219], v[134:135], s[2:3], v[136:137]
	s_mov_b32 s6, 0x372fe950
	v_fma_f64 v[220:221], v[122:123], s[2:3], v[166:167]
	v_fma_f64 v[222:223], v[120:121], s[10:11], v[168:169]
	;; [unrolled: 1-line block ×5, first 2 shown]
	s_mov_b32 s7, 0x3fd3c6ef
	v_add_f64_e64 v[130:131], v[64:65], -v[52:53]
	v_add_f64_e64 v[128:129], v[66:67], -v[54:55]
	v_add_f64_e32 v[226:227], v[110:111], v[8:9]
	v_add_f64_e64 v[150:151], v[162:163], -v[78:79]
	v_add_f64_e64 v[202:203], v[148:149], -v[162:163]
	;; [unrolled: 1-line block ×8, first 2 shown]
	v_add_f64_e32 v[64:65], v[138:139], v[64:65]
	v_add_f64_e32 v[66:67], v[140:141], v[66:67]
	;; [unrolled: 1-line block ×4, first 2 shown]
	s_wait_dscnt 0x0
	v_add_f64_e64 v[56:57], v[34:35], -v[50:51]
	v_add_f64_e64 v[58:59], v[32:33], -v[48:49]
	v_add_f64_e32 v[142:143], v[142:143], v[60:61]
	v_add_f64_e32 v[144:145], v[144:145], v[62:63]
	;; [unrolled: 1-line block ×4, first 2 shown]
	v_fma_f64 v[192:193], v[118:119], s[2:3], v[170:171]
	v_add_f64_e32 v[172:173], v[172:173], v[174:175]
	v_add_f64_e32 v[174:175], v[180:181], v[182:183]
	s_mov_b32 s0, 0x9b97f4a8
	s_mov_b32 s1, 0x3fe9e377
	v_add_f64_e64 v[100:101], v[112:113], -v[10:11]
	v_add_f64_e64 v[102:103], v[110:111], -v[8:9]
	v_fma_f64 v[176:177], v[176:177], -0.5, v[36:37]
	v_fma_f64 v[180:181], v[184:185], -0.5, v[38:39]
	v_fma_f64 v[190:191], v[120:121], s[12:13], v[218:219]
	v_add_f64_e64 v[218:219], v[78:79], -v[74:75]
	s_wait_alu 0xfffe
	v_fma_f64 v[198:199], v[196:197], s[14:15], v[220:221]
	v_fma_f64 v[200:201], v[134:135], s[12:13], v[222:223]
	v_fma_f64 v[220:221], v[230:231], -0.5, v[68:69]
	v_fma_f64 v[222:223], v[236:237], -0.5, v[70:71]
	;; [unrolled: 1-line block ×3, first 2 shown]
	v_add_f64_e32 v[78:79], v[204:205], v[78:79]
	v_fma_f64 v[204:205], v[104:105], s[10:11], v[82:83]
	v_fma_f64 v[188:189], v[122:123], s[14:15], v[188:189]
	v_fma_f64 v[70:71], v[240:241], -0.5, v[70:71]
	v_fma_f64 v[168:169], v[134:135], s[14:15], v[168:169]
	v_fma_f64 v[166:167], v[196:197], s[12:13], v[166:167]
	v_add_f64_e32 v[228:229], v[112:113], v[10:11]
	v_add_f64_e64 v[114:115], v[8:9], -v[60:61]
	v_add_f64_e64 v[110:111], v[60:61], -v[8:9]
	;; [unrolled: 1-line block ×4, first 2 shown]
	v_add_f64_e32 v[138:139], v[16:17], v[20:21]
	v_add_f64_e32 v[140:141], v[18:19], v[22:23]
	v_add_f64_e64 v[230:231], v[32:33], -v[44:45]
	v_add_f64_e64 v[236:237], v[48:49], -v[40:41]
	;; [unrolled: 1-line block ×5, first 2 shown]
	v_fma_f64 v[214:215], v[214:215], -0.5, v[4:5]
	v_fma_f64 v[4:5], v[226:227], -0.5, v[4:5]
	v_add_f64_e64 v[226:227], v[50:51], -v[42:43]
	v_fma_f64 v[182:183], v[98:99], s[10:11], v[84:85]
	v_fma_f64 v[134:135], v[134:135], s[10:11], v[136:137]
	;; [unrolled: 1-line block ×3, first 2 shown]
	v_add_f64_e32 v[52:53], v[64:65], v[52:53]
	v_add_f64_e32 v[54:55], v[66:67], v[54:55]
	;; [unrolled: 1-line block ×7, first 2 shown]
	v_fma_f64 v[190:191], v[132:133], s[6:7], v[190:191]
	v_fma_f64 v[84:85], v[98:99], s[2:3], v[84:85]
	;; [unrolled: 1-line block ×9, first 2 shown]
	v_add_f64_e32 v[66:67], v[78:79], v[74:75]
	v_fma_f64 v[74:75], v[98:99], s[12:13], v[192:193]
	v_fma_f64 v[76:77], v[88:89], s[14:15], v[204:205]
	;; [unrolled: 1-line block ×7, first 2 shown]
	v_add_f64_e32 v[178:179], v[232:233], v[208:209]
	v_add_f64_e32 v[208:209], v[234:235], v[210:211]
	v_fma_f64 v[166:167], v[194:195], s[6:7], v[166:167]
	v_fma_f64 v[194:195], v[56:57], s[10:11], v[176:177]
	;; [unrolled: 1-line block ×4, first 2 shown]
	v_fma_f64 v[224:225], v[224:225], -0.5, v[6:7]
	v_fma_f64 v[6:7], v[228:229], -0.5, v[6:7]
	v_add_f64_e32 v[72:73], v[126:127], v[130:131]
	v_fma_f64 v[86:87], v[88:89], s[10:11], v[86:87]
	v_add_f64_e32 v[162:163], v[162:163], v[218:219]
	v_fma_f64 v[170:171], v[118:119], s[10:11], v[170:171]
	v_fma_f64 v[70:71], v[146:147], s[10:11], v[70:71]
	;; [unrolled: 1-line block ×5, first 2 shown]
	v_add_f64_e32 v[120:121], v[52:53], v[0:1]
	v_add_f64_e32 v[122:123], v[54:55], v[2:3]
	v_add_f64_e64 v[126:127], v[54:55], -v[2:3]
	v_fma_f64 v[140:141], v[140:141], -0.5, v[30:31]
	v_add_f64_e64 v[134:135], v[8:9], -v[64:65]
	v_mul_f64_e32 v[142:143], s[0:1], v[190:191]
	v_mul_f64_e32 v[144:145], s[14:15], v[190:191]
	v_mul_f64_e32 v[164:165], s[2:3], v[198:199]
	v_mul_f64_e32 v[186:187], s[10:11], v[200:201]
	v_add_f64_e32 v[190:191], v[124:125], v[128:129]
	v_fma_f64 v[184:185], v[150:151], s[12:13], v[184:185]
	v_fma_f64 v[196:197], v[146:147], s[14:15], v[196:197]
	;; [unrolled: 1-line block ×5, first 2 shown]
	v_add_f64_e64 v[124:125], v[52:53], -v[0:1]
	v_add_f64_e32 v[128:129], v[8:9], v[64:65]
	v_add_f64_e32 v[130:131], v[10:11], v[66:67]
	v_add_f64_e64 v[136:137], v[10:11], -v[66:67]
	v_fma_f64 v[0:1], v[172:173], s[6:7], v[74:75]
	v_fma_f64 v[2:3], v[174:175], s[6:7], v[76:77]
	;; [unrolled: 1-line block ×3, first 2 shown]
	v_add_f64_e32 v[76:77], v[202:203], v[212:213]
	v_fma_f64 v[64:65], v[150:151], s[14:15], v[192:193]
	v_fma_f64 v[66:67], v[80:81], s[12:13], v[204:205]
	v_add_f64_e64 v[52:53], v[14:15], -v[26:27]
	v_add_f64_e64 v[54:55], v[12:13], -v[24:25]
	v_add_f64_e32 v[148:149], v[230:231], v[236:237]
	v_fma_f64 v[150:151], v[58:59], s[10:11], v[180:181]
	v_add_f64_e32 v[180:181], v[206:207], v[226:227]
	v_add_f64_e32 v[188:189], v[28:29], v[12:13]
	;; [unrolled: 1-line block ×3, first 2 shown]
	v_fma_f64 v[176:177], v[60:61], s[12:13], v[176:177]
	v_fma_f64 v[82:83], v[104:105], s[2:3], v[82:83]
	;; [unrolled: 1-line block ×8, first 2 shown]
	v_add_f64_e64 v[212:213], v[14:15], -v[18:19]
	v_add_f64_e32 v[94:95], v[94:95], v[114:115]
	v_add_f64_e32 v[108:109], v[108:109], v[116:117]
	v_fma_f64 v[8:9], v[78:79], s[12:13], v[142:143]
	v_fma_f64 v[10:11], v[78:79], s[0:1], v[144:145]
	v_fma_f64 v[142:143], v[200:201], s[6:7], v[164:165]
	v_fma_f64 v[144:145], v[198:199], s[6:7], v[186:187]
	v_fma_f64 v[78:79], v[118:119], s[14:15], v[84:85]
	v_fma_f64 v[118:119], v[138:139], -0.5, v[28:29]
	v_fma_f64 v[164:165], v[60:61], s[14:15], v[194:195]
	v_fma_f64 v[186:187], v[62:63], s[12:13], v[210:211]
	v_add_f64_e32 v[194:195], v[36:37], v[32:33]
	v_add_f64_e32 v[198:199], v[38:39], v[34:35]
	v_fma_f64 v[84:85], v[104:105], s[12:13], v[86:87]
	v_fma_f64 v[104:105], v[132:133], s[6:7], v[218:219]
	;; [unrolled: 1-line block ×14, first 2 shown]
	v_add_f64_e64 v[208:209], v[12:13], -v[16:17]
	v_add_f64_e64 v[210:211], v[24:25], -v[20:21]
	;; [unrolled: 1-line block ×4, first 2 shown]
	v_fma_f64 v[218:219], v[54:55], s[10:11], v[140:141]
	v_add_f64_e64 v[66:67], v[16:17], -v[20:21]
	v_fma_f64 v[140:141], v[54:55], s[2:3], v[140:141]
	v_fma_f64 v[150:151], v[62:63], s[14:15], v[150:151]
	v_add_f64_e32 v[188:189], v[188:189], v[16:17]
	v_add_f64_e32 v[192:193], v[192:193], v[18:19]
	v_mul_f64_e32 v[86:87], s[6:7], v[168:169]
	v_mul_f64_e32 v[138:139], s[6:7], v[166:167]
	v_fma_f64 v[82:83], v[88:89], s[12:13], v[82:83]
	v_fma_f64 v[70:71], v[76:77], s[6:7], v[70:71]
	;; [unrolled: 1-line block ×3, first 2 shown]
	v_add_f64_e32 v[92:93], v[92:93], v[110:111]
	v_add_f64_e32 v[106:107], v[106:107], v[112:113]
	v_fma_f64 v[170:171], v[102:103], s[14:15], v[202:203]
	v_fma_f64 v[6:7], v[102:103], s[12:13], v[6:7]
	;; [unrolled: 1-line block ×6, first 2 shown]
	v_add_f64_e32 v[194:195], v[194:195], v[44:45]
	v_add_f64_e32 v[198:199], v[198:199], v[46:47]
	v_fma_f64 v[148:149], v[148:149], s[6:7], v[176:177]
	v_mul_f64_e32 v[88:89], s[0:1], v[104:105]
	v_mul_f64_e32 v[176:177], s[0:1], v[132:133]
	;; [unrolled: 1-line block ×4, first 2 shown]
	v_fma_f64 v[114:115], v[90:91], s[12:13], v[160:161]
	v_mul_f64_e32 v[112:113], s[10:11], v[196:197]
	v_fma_f64 v[160:161], v[100:101], s[12:13], v[200:201]
	v_fma_f64 v[4:5], v[100:101], s[14:15], v[4:5]
	v_mul_f64_e32 v[100:101], s[6:7], v[68:69]
	v_mul_f64_e32 v[102:103], s[6:7], v[146:147]
	v_fma_f64 v[90:91], v[90:91], s[14:15], v[162:163]
	v_fma_f64 v[96:97], v[96:97], s[12:13], v[204:205]
	v_mul_f64_e32 v[110:111], s[2:3], v[184:185]
	v_add_f64_e32 v[202:203], v[208:209], v[210:211]
	v_add_f64_e32 v[204:205], v[212:213], v[214:215]
	v_mul_f64_e32 v[162:163], s[0:1], v[178:179]
	v_mul_f64_e32 v[200:201], s[0:1], v[206:207]
	v_fma_f64 v[210:211], v[66:67], s[14:15], v[218:219]
	v_fma_f64 v[140:141], v[66:67], s[12:13], v[140:141]
	;; [unrolled: 1-line block ×3, first 2 shown]
	v_add_f64_e32 v[188:189], v[188:189], v[20:21]
	v_add_f64_e32 v[192:193], v[192:193], v[22:23]
	v_fma_f64 v[182:183], v[72:73], s[6:7], v[182:183]
	v_fma_f64 v[218:219], v[72:73], s[6:7], v[78:79]
	v_fma_f64 v[166:167], v[166:167], s[2:3], -v[86:87]
	v_fma_f64 v[138:139], v[168:169], s[10:11], -v[138:139]
	v_fma_f64 v[168:169], v[172:173], s[6:7], v[98:99]
	v_fma_f64 v[172:173], v[174:175], s[6:7], v[82:83]
	v_fma_f64 v[224:225], v[108:109], s[6:7], v[116:117]
	v_fma_f64 v[170:171], v[106:107], s[6:7], v[170:171]
	v_fma_f64 v[6:7], v[106:107], s[6:7], v[6:7]
	v_fma_f64 v[208:209], v[64:65], s[12:13], v[216:217]
	v_fma_f64 v[118:119], v[64:65], s[14:15], v[118:119]
	v_mul_f64_e32 v[180:181], s[0:1], v[164:165]
	v_mul_f64_e32 v[212:213], s[0:1], v[186:187]
	v_add_f64_e32 v[194:195], v[194:195], v[40:41]
	v_add_f64_e32 v[198:199], v[198:199], v[42:43]
	v_mul_f64_e32 v[214:215], s[0:1], v[148:149]
	v_mul_f64_e32 v[148:149], s[14:15], v[148:149]
	v_fma_f64 v[216:217], v[190:191], s[6:7], v[74:75]
	v_fma_f64 v[190:191], v[190:191], s[6:7], v[84:85]
	v_fma_f64 v[132:133], v[132:133], s[12:13], -v[88:89]
	v_fma_f64 v[174:175], v[104:105], s[14:15], -v[176:177]
	v_fma_f64 v[176:177], v[70:71], s[12:13], v[76:77]
	v_fma_f64 v[220:221], v[70:71], s[0:1], v[80:81]
	;; [unrolled: 1-line block ×5, first 2 shown]
	v_fma_f64 v[226:227], v[146:147], s[2:3], -v[100:101]
	v_fma_f64 v[228:229], v[68:69], s[10:11], -v[102:103]
	v_fma_f64 v[230:231], v[94:95], s[6:7], v[90:91]
	v_fma_f64 v[196:197], v[196:197], s[6:7], v[110:111]
	;; [unrolled: 1-line block ×4, first 2 shown]
	v_fma_f64 v[206:207], v[206:207], s[12:13], -v[162:163]
	v_fma_f64 v[80:81], v[204:205], s[6:7], v[210:211]
	v_fma_f64 v[88:89], v[204:205], s[6:7], v[140:141]
	v_fma_f64 v[200:201], v[178:179], s[14:15], -v[200:201]
	v_add_f64_e32 v[74:75], v[188:189], v[24:25]
	v_add_f64_e32 v[82:83], v[192:193], v[26:27]
	;; [unrolled: 1-line block ×4, first 2 shown]
	v_add_f64_e64 v[96:97], v[0:1], -v[8:9]
	v_add_f64_e64 v[98:99], v[2:3], -v[10:11]
	v_add_f64_e32 v[100:101], v[182:183], v[142:143]
	v_add_f64_e64 v[104:105], v[182:183], -v[142:143]
	v_add_f64_e32 v[108:109], v[218:219], v[166:167]
	v_add_f64_e64 v[112:113], v[218:219], -v[166:167]
	global_wb scope:SCOPE_SE
	v_fma_f64 v[72:73], v[202:203], s[6:7], v[208:209]
	v_fma_f64 v[68:69], v[202:203], s[6:7], v[118:119]
	v_fma_f64 v[70:71], v[186:187], s[12:13], -v[180:181]
	v_fma_f64 v[90:91], v[164:165], s[14:15], -v[212:213]
	v_add_f64_e32 v[76:77], v[194:195], v[48:49]
	v_add_f64_e32 v[84:85], v[198:199], v[50:51]
	v_fma_f64 v[78:79], v[150:151], s[12:13], v[214:215]
	v_fma_f64 v[86:87], v[150:151], s[0:1], v[148:149]
	v_add_f64_e32 v[102:103], v[216:217], v[144:145]
	v_add_f64_e32 v[110:111], v[190:191], v[138:139]
	v_add_f64_e64 v[114:115], v[190:191], -v[138:139]
	v_add_f64_e32 v[116:117], v[168:169], v[132:133]
	v_add_f64_e32 v[118:119], v[172:173], v[174:175]
	v_add_f64_e64 v[138:139], v[168:169], -v[132:133]
	v_add_f64_e64 v[140:141], v[172:173], -v[174:175]
	v_add_f64_e32 v[142:143], v[222:223], v[176:177]
	v_add_f64_e64 v[146:147], v[222:223], -v[176:177]
	v_add_f64_e64 v[148:149], v[224:225], -v[220:221]
	v_add_f64_e32 v[165:166], v[170:171], v[184:185]
	v_add_f64_e64 v[169:170], v[170:171], -v[184:185]
	v_add_f64_e32 v[171:172], v[4:5], v[226:227]
	v_add_f64_e32 v[173:174], v[6:7], v[228:229]
	v_add_f64_e64 v[175:176], v[4:5], -v[226:227]
	v_add_f64_e64 v[177:178], v[6:7], -v[228:229]
	;; [unrolled: 1-line block ×6, first 2 shown]
	v_add_f64_e32 v[144:145], v[224:225], v[220:221]
	v_add_f64_e32 v[163:164], v[160:161], v[196:197]
	;; [unrolled: 1-line block ×4, first 2 shown]
	v_mul_u32_u24_e32 v132, 10, v152
	s_barrier_signal -1
	s_barrier_wait -1
	global_inv scope:SCOPE_SE
	v_cmp_gt_u32_e64 s0, 45, v152
	v_lshl_add_u32 v132, v132, 4, 0
	ds_store_b128 v132, v[120:123]
	ds_store_b128 v132, v[92:95] offset:16
	v_add_f64_e32 v[8:9], v[68:69], v[70:71]
	v_add_f64_e32 v[10:11], v[88:89], v[90:91]
	v_add_f64_e64 v[0:1], v[74:75], -v[76:77]
	v_add_f64_e64 v[2:3], v[82:83], -v[84:85]
	;; [unrolled: 1-line block ×4, first 2 shown]
	v_mul_i32_i24_e32 v92, 10, v157
	ds_store_b128 v132, v[100:103] offset:32
	ds_store_b128 v132, v[108:111] offset:48
	;; [unrolled: 1-line block ×4, first 2 shown]
	v_lshl_add_u32 v162, v92, 4, 0
	ds_store_b128 v132, v[96:99] offset:96
	ds_store_b128 v132, v[104:107] offset:112
	;; [unrolled: 1-line block ×4, first 2 shown]
	ds_store_b128 v162, v[128:131]
	ds_store_b128 v162, v[142:145] offset:16
	ds_store_b128 v162, v[163:166] offset:32
	;; [unrolled: 1-line block ×9, first 2 shown]
	s_and_saveexec_b32 s1, s0
	s_cbranch_execz .LBB0_15
; %bb.14:
	v_add_f64_e32 v[92:93], v[34:35], v[50:51]
	v_add_f64_e32 v[94:95], v[32:33], v[48:49]
	v_add_f64_e64 v[32:33], v[44:45], -v[32:33]
	v_add_f64_e64 v[34:35], v[46:47], -v[34:35]
	;; [unrolled: 1-line block ×3, first 2 shown]
	v_add_f64_e32 v[44:45], v[12:13], v[24:25]
	v_add_f64_e64 v[40:41], v[40:41], -v[48:49]
	v_add_f64_e64 v[12:13], v[16:17], -v[12:13]
	;; [unrolled: 1-line block ×3, first 2 shown]
	v_fma_f64 v[38:39], v[92:93], -0.5, v[38:39]
	v_fma_f64 v[36:37], v[94:95], -0.5, v[36:37]
	v_add_f64_e32 v[92:93], v[14:15], v[26:27]
	v_add_f64_e64 v[14:15], v[18:19], -v[14:15]
	v_add_f64_e32 v[34:35], v[34:35], v[42:43]
	v_fma_f64 v[28:29], v[44:45], -0.5, v[28:29]
	v_add_f64_e32 v[32:33], v[32:33], v[40:41]
	v_add_f64_e64 v[18:19], v[22:23], -v[26:27]
	v_add_f64_e32 v[12:13], v[12:13], v[16:17]
	v_fma_f64 v[46:47], v[62:63], s[10:11], v[38:39]
	v_fma_f64 v[48:49], v[60:61], s[10:11], v[36:37]
	v_fma_f64 v[38:39], v[62:63], s[2:3], v[38:39]
	v_fma_f64 v[36:37], v[60:61], s[2:3], v[36:37]
	v_fma_f64 v[30:31], v[92:93], -0.5, v[30:31]
	v_fma_f64 v[24:25], v[64:65], s[2:3], v[28:29]
	v_fma_f64 v[28:29], v[64:65], s[10:11], v[28:29]
	v_add_f64_e32 v[14:15], v[14:15], v[18:19]
	v_fma_f64 v[42:43], v[58:59], s[12:13], v[46:47]
	v_fma_f64 v[40:41], v[56:57], s[12:13], v[48:49]
	;; [unrolled: 1-line block ×14, first 2 shown]
	v_mul_f64_e32 v[22:23], s[6:7], v[26:27]
	v_mul_f64_e32 v[28:29], s[10:11], v[30:31]
	;; [unrolled: 1-line block ×4, first 2 shown]
	v_fma_f64 v[40:41], v[14:15], s[6:7], v[16:17]
	v_fma_f64 v[42:43], v[14:15], s[6:7], v[18:19]
	;; [unrolled: 1-line block ×4, first 2 shown]
	v_add_f64_e32 v[20:21], v[74:75], v[76:77]
	v_add_f64_e32 v[18:19], v[80:81], v[86:87]
	;; [unrolled: 1-line block ×3, first 2 shown]
	v_add_f64_e64 v[14:15], v[88:89], -v[90:91]
	v_fma_f64 v[32:33], v[32:33], s[10:11], -v[22:23]
	v_fma_f64 v[24:25], v[34:35], s[6:7], v[28:29]
	v_fma_f64 v[36:37], v[30:31], s[6:7], v[36:37]
	v_fma_f64 v[46:47], v[26:27], s[2:3], -v[38:39]
	v_add_f64_e32 v[22:23], v[82:83], v[84:85]
	v_add_f64_e64 v[26:27], v[40:41], -v[32:33]
	v_add_f64_e32 v[30:31], v[40:41], v[32:33]
	v_add_f64_e32 v[34:35], v[42:43], v[24:25]
	;; [unrolled: 1-line block ×4, first 2 shown]
	v_add_f64_e64 v[38:39], v[42:43], -v[24:25]
	v_add_f64_e64 v[36:37], v[12:13], -v[36:37]
	;; [unrolled: 1-line block ×4, first 2 shown]
	v_mul_i32_i24_e32 v40, 10, v156
	s_delay_alu instid0(VALU_DEP_1)
	v_lshl_add_u32 v40, v40, 4, 0
	ds_store_b128 v40, v[8:11] offset:64
	ds_store_b128 v40, v[0:3] offset:80
	ds_store_b128 v40, v[20:23]
	ds_store_b128 v40, v[16:19] offset:16
	ds_store_b128 v40, v[32:35] offset:32
	;; [unrolled: 1-line block ×7, first 2 shown]
.LBB0_15:
	s_wait_alu 0xfffe
	s_or_b32 exec_lo, exec_lo, s1
	v_mad_i32_i24 v12, 0xffffff70, v157, v162
	v_lshl_add_u32 v160, v156, 4, 0
	global_wb scope:SCOPE_SE
	s_wait_dscnt 0x0
	s_barrier_signal -1
	s_barrier_wait -1
	global_inv scope:SCOPE_SE
	ds_load_b128 v[36:39], v12
	ds_load_b128 v[12:15], v160
	ds_load_b128 v[96:99], v159 offset:13440
	ds_load_b128 v[88:91], v159 offset:14880
	;; [unrolled: 1-line block ×20, first 2 shown]
	ds_load_b128 v[40:43], v159
	ds_load_b128 v[64:67], v159 offset:34080
	v_cmp_gt_u32_e64 s1, 30, v152
	s_delay_alu instid0(VALU_DEP_1)
	s_and_saveexec_b32 s2, s1
	s_cbranch_execz .LBB0_17
; %bb.16:
	ds_load_b128 v[0:3], v159 offset:23520
	ds_load_b128 v[8:11], v159 offset:11520
	;; [unrolled: 1-line block ×3, first 2 shown]
.LBB0_17:
	s_wait_alu 0xfffe
	s_or_b32 exec_lo, exec_lo, s2
	v_and_b32_e32 v128, 0xff, v152
	v_and_b32_e32 v127, 0xff, v157
	;; [unrolled: 1-line block ×3, first 2 shown]
	v_add_nc_u32_e32 v158, 0x10e, v152
	v_add_nc_u32_e32 v153, 0x168, v152
	v_mul_lo_u16 v108, 0xcd, v128
	v_add_nc_u32_e32 v165, 0x1c2, v152
	v_mul_u32_u24_e32 v110, 0xcccd, v124
	v_and_b32_e32 v125, 0xffff, v158
	v_and_b32_e32 v126, 0xffff, v153
	v_lshrrev_b16 v132, 11, v108
	v_add_nc_u32_e32 v163, 0x21c, v152
	v_lshrrev_b32_e32 v139, 19, v110
	v_mul_u32_u24_e32 v110, 0xcccd, v125
	v_mul_u32_u24_e32 v113, 0xcccd, v126
	v_mul_lo_u16 v108, v132, 10
	v_and_b32_e32 v111, 0xffff, v163
	v_add_nc_u32_e32 v164, 0x276, v152
	v_lshrrev_b32_e32 v141, 19, v110
	v_and_b32_e32 v110, 0xffff, v165
	v_sub_nc_u16 v108, v152, v108
	v_lshrrev_b32_e32 v225, 19, v113
	v_add_nc_u32_e32 v161, 0x2d0, v152
	v_and_b32_e32 v112, 0xffff, v164
	v_mul_u32_u24_e32 v110, 0xcccd, v110
	v_and_b32_e32 v129, 0xff, v108
	v_mul_lo_u16 v108, 0xcd, v127
	v_and_b32_e32 v114, 0xffff, v161
	v_mul_u32_u24_e32 v112, 0xcccd, v112
	v_lshrrev_b32_e32 v226, 19, v110
	v_lshlrev_b32_e32 v109, 5, v129
	v_lshrrev_b16 v133, 11, v108
	v_mul_lo_u16 v110, v225, 10
	v_lshrrev_b32_e32 v143, 19, v112
	v_mul_lo_u16 v116, v226, 10
	s_clause 0x1
	global_load_b128 v[144:147], v109, s[4:5]
	global_load_b128 v[148:151], v109, s[4:5] offset:16
	v_mul_lo_u16 v108, v133, 10
	v_sub_nc_u16 v115, v153, v110
	v_mul_lo_u16 v118, v143, 10
	v_lshlrev_b32_e32 v129, 4, v129
	s_mov_b32 s2, 0xe8584caa
	v_sub_nc_u16 v108, v157, v108
	v_and_b32_e32 v134, 0xffff, v115
	v_sub_nc_u16 v138, v164, v118
	s_mov_b32 s3, 0x3febb67a
	s_mov_b32 s7, 0xbfebb67a
	v_and_b32_e32 v135, 0xff, v108
	v_mul_lo_u16 v108, v139, 10
	v_and_b32_e32 v138, 0xffff, v138
	v_mul_u32_u24_e32 v139, 0x1e0, v139
	s_wait_alu 0xfffe
	s_mov_b32 s6, s2
	v_lshlrev_b32_e32 v109, 5, v135
	v_sub_nc_u16 v108, v156, v108
	v_lshlrev_b32_e32 v135, 4, v135
	s_clause 0x1
	global_load_b128 v[167:170], v109, s[4:5]
	global_load_b128 v[171:174], v109, s[4:5] offset:16
	v_and_b32_e32 v140, 0xffff, v108
	v_mul_lo_u16 v108, v141, 10
	s_delay_alu instid0(VALU_DEP_2) | instskip(NEXT) | instid1(VALU_DEP_2)
	v_lshlrev_b32_e32 v109, 5, v140
	v_sub_nc_u16 v108, v158, v108
	v_lshlrev_b32_e32 v140, 4, v140
	s_clause 0x1
	global_load_b128 v[175:178], v109, s[4:5]
	global_load_b128 v[179:182], v109, s[4:5] offset:16
	v_and_b32_e32 v142, 0xffff, v108
	v_mul_u32_u24_e32 v108, 0xcccd, v111
	s_delay_alu instid0(VALU_DEP_2) | instskip(NEXT) | instid1(VALU_DEP_2)
	v_lshlrev_b32_e32 v113, 5, v142
	v_lshrrev_b32_e32 v227, 19, v108
	s_clause 0x1
	global_load_b128 v[108:111], v113, s[4:5] offset:16
	global_load_b128 v[183:186], v113, s[4:5]
	v_mul_u32_u24_e32 v113, 0xcccd, v114
	v_mul_lo_u16 v115, v227, 10
	v_sub_nc_u16 v114, v165, v116
	v_lshlrev_b32_e32 v116, 5, v134
	s_delay_alu instid0(VALU_DEP_4) | instskip(NEXT) | instid1(VALU_DEP_4)
	v_lshrrev_b32_e32 v130, 19, v113
	v_sub_nc_u16 v117, v163, v115
	s_delay_alu instid0(VALU_DEP_4)
	v_and_b32_e32 v136, 0xffff, v114
	global_load_b128 v[112:115], v116, s[4:5]
	v_mul_lo_u16 v131, v130, 10
	v_and_b32_e32 v137, 0xffff, v117
	v_lshlrev_b32_e32 v166, 5, v136
	s_clause 0x1
	global_load_b128 v[116:119], v116, s[4:5] offset:16
	global_load_b128 v[120:123], v166, s[4:5]
	v_sub_nc_u16 v131, v161, v131
	v_lshlrev_b32_e32 v195, 5, v137
	s_clause 0x1
	global_load_b128 v[187:190], v166, s[4:5] offset:16
	global_load_b128 v[191:194], v195, s[4:5]
	v_and_b32_e32 v131, 0xffff, v131
	v_lshlrev_b32_e32 v166, 5, v138
	s_clause 0x1
	global_load_b128 v[195:198], v195, s[4:5] offset:16
	global_load_b128 v[199:202], v166, s[4:5]
	v_lshlrev_b32_e32 v211, 5, v131
	s_clause 0x2
	global_load_b128 v[203:206], v166, s[4:5] offset:16
	global_load_b128 v[207:210], v211, s[4:5]
	global_load_b128 v[211:214], v211, s[4:5] offset:16
	v_mul_i32_i24_e32 v166, 0xffffff70, v157
	global_wb scope:SCOPE_SE
	s_wait_loadcnt_dscnt 0x0
	s_barrier_signal -1
	s_barrier_wait -1
	global_inv scope:SCOPE_SE
	v_mul_f64_e32 v[215:216], v[106:107], v[146:147]
	v_mul_f64_e32 v[146:147], v[104:105], v[146:147]
	;; [unrolled: 1-line block ×10, first 2 shown]
	v_fma_f64 v[104:105], v[104:105], v[144:145], -v[215:216]
	v_fma_f64 v[106:107], v[106:107], v[144:145], v[146:147]
	v_mul_f64_e32 v[144:145], v[86:87], v[181:182]
	v_mul_f64_e32 v[146:147], v[84:85], v[181:182]
	v_and_b32_e32 v215, 0xffff, v132
	v_and_b32_e32 v216, 0xffff, v133
	v_fma_f64 v[100:101], v[100:101], v[148:149], -v[217:218]
	v_fma_f64 v[102:103], v[102:103], v[148:149], v[150:151]
	v_mul_f64_e32 v[181:182], v[82:83], v[185:186]
	v_mul_f64_e32 v[185:186], v[80:81], v[185:186]
	;; [unrolled: 1-line block ×4, first 2 shown]
	v_mul_u32_u24_e32 v217, 0x1e0, v143
	v_add3_u32 v218, 0, v139, v140
	v_mul_f64_e32 v[148:149], v[46:47], v[114:115]
	v_mul_f64_e32 v[114:115], v[44:45], v[114:115]
	v_fma_f64 v[96:97], v[96:97], v[167:168], -v[219:220]
	v_fma_f64 v[98:99], v[98:99], v[167:168], v[169:170]
	v_mul_f64_e32 v[150:151], v[50:51], v[118:119]
	v_mul_f64_e32 v[118:119], v[48:49], v[118:119]
	v_fma_f64 v[92:93], v[92:93], v[171:172], -v[221:222]
	v_fma_f64 v[94:95], v[94:95], v[171:172], v[173:174]
	v_mul_f64_e32 v[167:168], v[74:75], v[122:123]
	v_mul_f64_e32 v[122:123], v[72:73], v[122:123]
	;; [unrolled: 1-line block ×6, first 2 shown]
	v_fma_f64 v[88:89], v[88:89], v[175:176], -v[223:224]
	v_fma_f64 v[90:91], v[90:91], v[175:176], v[177:178]
	v_mul_f64_e32 v[175:176], v[58:59], v[197:198]
	v_mul_f64_e32 v[177:178], v[56:57], v[197:198]
	;; [unrolled: 1-line block ×4, first 2 shown]
	v_fma_f64 v[84:85], v[84:85], v[179:180], -v[144:145]
	v_fma_f64 v[86:87], v[86:87], v[179:180], v[146:147]
	v_mul_f64_e32 v[179:180], v[2:3], v[209:210]
	v_mul_f64_e32 v[201:202], v[0:1], v[209:210]
	;; [unrolled: 1-line block ×4, first 2 shown]
	v_fma_f64 v[80:81], v[80:81], v[183:184], -v[181:182]
	v_fma_f64 v[82:83], v[82:83], v[183:184], v[185:186]
	v_mul_f64_e32 v[181:182], v[6:7], v[213:214]
	v_mul_f64_e32 v[183:184], v[4:5], v[213:214]
	v_fma_f64 v[68:69], v[68:69], v[108:109], -v[132:133]
	v_fma_f64 v[70:71], v[70:71], v[108:109], v[110:111]
	v_mul_u32_u24_e32 v213, 0x1e0, v141
	v_lshlrev_b32_e32 v219, 4, v142
	v_mul_u32_u24_e32 v185, 0x1e0, v215
	v_fma_f64 v[108:109], v[44:45], v[112:113], -v[148:149]
	v_fma_f64 v[110:111], v[46:47], v[112:113], v[114:115]
	v_mul_u32_u24_e32 v186, 0x1e0, v216
	v_mul_u32_u24_e32 v214, 0x1e0, v225
	v_add3_u32 v129, 0, v185, v129
	v_mul_u32_u24_e32 v215, 0x1e0, v226
	v_mul_u32_u24_e32 v216, 0x1e0, v227
	v_fma_f64 v[112:113], v[48:49], v[116:117], -v[150:151]
	v_fma_f64 v[114:115], v[50:51], v[116:117], v[118:119]
	v_add_f64_e32 v[116:117], v[36:37], v[96:97]
	v_add_f64_e32 v[118:119], v[96:97], v[92:93]
	v_fma_f64 v[72:73], v[72:73], v[120:121], -v[167:168]
	v_fma_f64 v[74:75], v[74:75], v[120:121], v[122:123]
	v_fma_f64 v[76:77], v[76:77], v[187:188], -v[169:170]
	v_fma_f64 v[78:79], v[78:79], v[187:188], v[171:172]
	;; [unrolled: 2-line block ×3, first 2 shown]
	v_add_f64_e32 v[122:123], v[38:39], v[98:99]
	v_add_f64_e64 v[120:121], v[98:99], -v[94:95]
	v_fma_f64 v[56:57], v[56:57], v[195:196], -v[175:176]
	v_fma_f64 v[58:59], v[58:59], v[195:196], v[177:178]
	v_fma_f64 v[60:61], v[60:61], v[199:200], -v[193:194]
	v_fma_f64 v[62:63], v[62:63], v[199:200], v[197:198]
	v_add_f64_e32 v[139:140], v[88:89], v[84:85]
	v_add_f64_e64 v[141:142], v[90:91], -v[86:87]
	v_fma_f64 v[44:45], v[0:1], v[207:208], -v[179:180]
	v_fma_f64 v[50:51], v[2:3], v[207:208], v[201:202]
	v_fma_f64 v[64:65], v[64:65], v[203:204], -v[144:145]
	v_fma_f64 v[66:67], v[66:67], v[203:204], v[146:147]
	v_add_f64_e32 v[0:1], v[40:41], v[104:105]
	v_add_f64_e32 v[2:3], v[104:105], v[100:101]
	v_fma_f64 v[46:47], v[4:5], v[211:212], -v[181:182]
	v_fma_f64 v[48:49], v[6:7], v[211:212], v[183:184]
	v_add_f64_e64 v[4:5], v[106:107], -v[102:103]
	v_add_f64_e32 v[6:7], v[42:43], v[106:107]
	v_add_f64_e32 v[106:107], v[106:107], v[102:103]
	;; [unrolled: 1-line block ×5, first 2 shown]
	v_add_f64_e64 v[149:150], v[82:83], -v[70:71]
	v_add_f64_e32 v[167:168], v[26:27], v[82:83]
	v_add_f64_e32 v[82:83], v[82:83], v[70:71]
	;; [unrolled: 1-line block ×4, first 2 shown]
	v_add3_u32 v135, 0, v186, v135
	v_add_f64_e32 v[171:172], v[108:109], v[112:113]
	v_add_f64_e64 v[173:174], v[110:111], -v[114:115]
	v_add_f64_e32 v[110:111], v[110:111], v[114:115]
	v_add_f64_e32 v[145:146], v[24:25], v[80:81]
	v_add_f64_e64 v[169:170], v[80:81], -v[68:69]
	v_add_f64_e32 v[80:81], v[16:17], v[108:109]
	v_add_f64_e32 v[177:178], v[72:73], v[76:77]
	;; [unrolled: 1-line block ×4, first 2 shown]
	v_add_f64_e64 v[189:190], v[72:73], -v[76:77]
	v_add_f64_e32 v[132:133], v[12:13], v[88:89]
	v_add_f64_e64 v[88:89], v[88:89], -v[84:85]
	v_add_f64_e32 v[185:186], v[52:53], v[56:57]
	v_add_f64_e32 v[187:188], v[54:55], v[58:59]
	v_add_f64_e64 v[183:184], v[74:75], -v[78:79]
	v_add_f64_e32 v[74:75], v[30:31], v[74:75]
	;; [unrolled: 3-line block ×3, first 2 shown]
	v_add_f64_e32 v[203:204], v[34:35], v[62:63]
	v_add_f64_e32 v[72:73], v[60:61], v[64:65]
	;; [unrolled: 1-line block ×3, first 2 shown]
	v_add_f64_e64 v[205:206], v[62:63], -v[66:67]
	v_fma_f64 v[2:3], v[2:3], -0.5, v[40:41]
	v_add_f64_e32 v[197:198], v[44:45], v[46:47]
	v_add_f64_e32 v[199:200], v[50:51], v[48:49]
	v_add_f64_e64 v[209:210], v[44:45], -v[46:47]
	v_fma_f64 v[139:140], v[139:140], -0.5, v[12:13]
	v_fma_f64 v[62:63], v[106:107], -0.5, v[42:43]
	;; [unrolled: 1-line block ×3, first 2 shown]
	v_add_f64_e64 v[118:119], v[50:51], -v[48:49]
	v_add_f64_e32 v[12:13], v[0:1], v[100:101]
	v_fma_f64 v[0:1], v[90:91], -0.5, v[14:15]
	v_add_f64_e32 v[14:15], v[6:7], v[102:103]
	v_fma_f64 v[6:7], v[147:148], -0.5, v[24:25]
	;; [unrolled: 2-line block ×3, first 2 shown]
	v_add_f64_e32 v[26:27], v[122:123], v[94:95]
	v_add_f64_e64 v[104:105], v[104:105], -v[100:101]
	v_add_f64_e64 v[195:196], v[54:55], -v[58:59]
	v_add_f64_e32 v[54:55], v[22:23], v[54:55]
	v_add_f64_e64 v[96:97], v[96:97], -v[92:93]
	v_fma_f64 v[98:99], v[98:99], -0.5, v[38:39]
	v_add_f64_e64 v[108:109], v[108:109], -v[112:113]
	v_fma_f64 v[90:91], v[171:172], -0.5, v[16:17]
	v_fma_f64 v[92:93], v[110:111], -0.5, v[18:19]
	v_fma_f64 v[94:95], v[177:178], -0.5, v[28:29]
	v_fma_f64 v[100:101], v[181:182], -0.5, v[30:31]
	v_add_f64_e64 v[207:208], v[60:61], -v[64:65]
	v_add_f64_e32 v[30:31], v[167:168], v[70:71]
	v_fma_f64 v[102:103], v[185:186], -0.5, v[20:21]
	v_fma_f64 v[110:111], v[187:188], -0.5, v[22:23]
	v_add_f64_e32 v[20:21], v[80:81], v[112:113]
	v_add_f64_e32 v[22:23], v[175:176], v[114:115]
	;; [unrolled: 1-line block ×6, first 2 shown]
	v_fma_f64 v[112:113], v[72:73], -0.5, v[32:33]
	v_fma_f64 v[114:115], v[193:194], -0.5, v[34:35]
	v_add_f64_e32 v[32:33], v[179:180], v[76:77]
	v_add_f64_e32 v[34:35], v[74:75], v[78:79]
	v_fma_f64 v[116:117], v[197:198], -0.5, v[8:9]
	v_fma_f64 v[122:123], v[199:200], -0.5, v[10:11]
	v_fma_f64 v[52:53], v[4:5], s[2:3], v[2:3]
	s_wait_alu 0xfffe
	v_fma_f64 v[56:57], v[4:5], s[6:7], v[2:3]
	v_add_f64_e32 v[18:19], v[143:144], v[86:87]
	v_fma_f64 v[60:61], v[120:121], s[2:3], v[106:107]
	v_fma_f64 v[64:65], v[120:121], s[6:7], v[106:107]
	v_add_f64_e32 v[28:29], v[145:146], v[68:69]
	v_fma_f64 v[70:71], v[88:89], s[6:7], v[0:1]
	v_fma_f64 v[74:75], v[88:89], s[2:3], v[0:1]
	;; [unrolled: 1-line block ×8, first 2 shown]
	v_add_f64_e32 v[38:39], v[54:55], v[58:59]
	v_fma_f64 v[54:55], v[104:105], s[6:7], v[62:63]
	v_fma_f64 v[58:59], v[104:105], s[2:3], v[62:63]
	;; [unrolled: 1-line block ×16, first 2 shown]
	v_add3_u32 v120, 0, v213, v219
	v_fma_f64 v[108:109], v[205:206], s[2:3], v[112:113]
	v_fma_f64 v[110:111], v[207:208], s[6:7], v[114:115]
	;; [unrolled: 1-line block ×8, first 2 shown]
	v_lshlrev_b32_e32 v116, 4, v134
	v_lshlrev_b32_e32 v117, 4, v136
	;; [unrolled: 1-line block ×4, first 2 shown]
	s_delay_alu instid0(VALU_DEP_4) | instskip(NEXT) | instid1(VALU_DEP_4)
	v_add3_u32 v116, 0, v214, v116
	v_add3_u32 v117, 0, v215, v117
	s_delay_alu instid0(VALU_DEP_4) | instskip(NEXT) | instid1(VALU_DEP_4)
	v_add3_u32 v118, 0, v216, v118
	v_add3_u32 v119, 0, v217, v119
	ds_store_b128 v129, v[12:15]
	ds_store_b128 v129, v[52:55] offset:160
	ds_store_b128 v129, v[56:59] offset:320
	ds_store_b128 v135, v[24:27]
	ds_store_b128 v135, v[60:63] offset:160
	ds_store_b128 v135, v[64:67] offset:320
	;; [unrolled: 3-line block ×8, first 2 shown]
	s_and_saveexec_b32 s2, s1
	s_cbranch_execz .LBB0_19
; %bb.18:
	v_add_f64_e32 v[10:11], v[10:11], v[50:51]
	v_add_f64_e32 v[8:9], v[8:9], v[44:45]
	v_mul_lo_u16 v12, v130, 30
	v_lshlrev_b32_e32 v13, 4, v131
	s_delay_alu instid0(VALU_DEP_2) | instskip(NEXT) | instid1(VALU_DEP_1)
	v_and_b32_e32 v12, 0xffff, v12
	v_lshlrev_b32_e32 v12, 4, v12
	s_delay_alu instid0(VALU_DEP_1)
	v_add3_u32 v12, 0, v13, v12
	v_add_f64_e32 v[10:11], v[10:11], v[48:49]
	v_add_f64_e32 v[8:9], v[8:9], v[46:47]
	ds_store_b128 v12, v[8:11]
	ds_store_b128 v12, v[0:3] offset:160
	ds_store_b128 v12, v[4:7] offset:320
.LBB0_19:
	s_wait_alu 0xfffe
	s_or_b32 exec_lo, exec_lo, s2
	v_mul_lo_u16 v8, 0x89, v128
	global_wb scope:SCOPE_SE
	s_wait_dscnt 0x0
	s_barrier_signal -1
	s_barrier_wait -1
	global_inv scope:SCOPE_SE
	v_lshrrev_b16 v172, 12, v8
	v_add_nc_u32_e32 v162, v162, v166
	s_mov_b32 s12, 0x134454ff
	s_mov_b32 s13, 0x3fee6f0e
	;; [unrolled: 1-line block ×3, first 2 shown]
	v_mul_lo_u16 v8, v172, 30
	s_wait_alu 0xfffe
	s_mov_b32 s14, s12
	s_mov_b32 s6, 0x4755a5e
	;; [unrolled: 1-line block ×4, first 2 shown]
	v_sub_nc_u16 v8, v152, v8
	s_wait_alu 0xfffe
	s_mov_b32 s10, s6
	s_mov_b32 s2, 0x372fe950
	;; [unrolled: 1-line block ×3, first 2 shown]
	v_and_b32_e32 v171, 0xff, v8
	v_mul_lo_u16 v8, 0x89, v127
	s_delay_alu instid0(VALU_DEP_2) | instskip(NEXT) | instid1(VALU_DEP_2)
	v_lshlrev_b32_e32 v9, 6, v171
	v_lshrrev_b16 v173, 12, v8
	v_mul_u32_u24_e32 v8, 0x8889, v124
	v_lshlrev_b32_e32 v247, 4, v171
	s_clause 0x1
	global_load_b128 v[20:23], v9, s[4:5] offset:320
	global_load_b128 v[36:39], v9, s[4:5] offset:336
	v_mul_lo_u16 v10, v173, 30
	s_clause 0x1
	global_load_b128 v[60:63], v9, s[4:5] offset:352
	global_load_b128 v[80:83], v9, s[4:5] offset:368
	v_lshrrev_b32_e32 v174, 20, v8
	v_sub_nc_u16 v8, v157, v10
	v_mul_u32_u24_e32 v10, 0x8889, v125
	s_delay_alu instid0(VALU_DEP_3) | instskip(SKIP_1) | instid1(VALU_DEP_4)
	v_mul_lo_u16 v11, v174, 30
	v_mul_u32_u24_e32 v166, 0x960, v174
	v_and_b32_e32 v167, 0xff, v8
	s_delay_alu instid0(VALU_DEP_4) | instskip(SKIP_2) | instid1(VALU_DEP_4)
	v_lshrrev_b32_e32 v175, 20, v10
	v_mul_u32_u24_e32 v10, 0x8889, v126
	v_sub_nc_u16 v8, v156, v11
	v_lshlrev_b32_e32 v9, 6, v167
	s_delay_alu instid0(VALU_DEP_4) | instskip(NEXT) | instid1(VALU_DEP_4)
	v_mul_lo_u16 v11, v175, 30
	v_lshrrev_b32_e32 v176, 20, v10
	s_delay_alu instid0(VALU_DEP_4)
	v_and_b32_e32 v168, 0xffff, v8
	v_mul_u32_u24_e32 v243, 0x960, v175
	s_clause 0x1
	global_load_b128 v[116:119], v9, s[4:5] offset:320
	global_load_b128 v[124:127], v9, s[4:5] offset:336
	v_sub_nc_u16 v8, v158, v11
	v_lshlrev_b32_e32 v10, 6, v168
	s_clause 0x1
	global_load_b128 v[44:47], v9, s[4:5] offset:352
	global_load_b128 v[40:43], v9, s[4:5] offset:368
	v_mul_u32_u24_e32 v244, 0x960, v176
	v_and_b32_e32 v169, 0xffff, v8
	v_mul_lo_u16 v8, v176, 30
	s_clause 0x2
	global_load_b128 v[52:55], v10, s[4:5] offset:320
	global_load_b128 v[48:51], v10, s[4:5] offset:336
	;; [unrolled: 1-line block ×3, first 2 shown]
	v_lshlrev_b32_e32 v9, 6, v169
	v_sub_nc_u16 v8, v153, v8
	s_clause 0x3
	global_load_b128 v[84:87], v10, s[4:5] offset:368
	global_load_b128 v[76:79], v9, s[4:5] offset:320
	;; [unrolled: 1-line block ×4, first 2 shown]
	v_and_b32_e32 v170, 0xffff, v8
	s_delay_alu instid0(VALU_DEP_1)
	v_lshlrev_b32_e32 v8, 6, v170
	s_clause 0x4
	global_load_b128 v[64:67], v9, s[4:5] offset:368
	global_load_b128 v[24:27], v8, s[4:5] offset:320
	;; [unrolled: 1-line block ×5, first 2 shown]
	ds_load_b128 v[140:143], v159 offset:7200
	ds_load_b128 v[132:135], v159 offset:14400
	ds_load_b128 v[128:131], v159 offset:15840
	ds_load_b128 v[144:147], v159 offset:21600
	ds_load_b128 v[28:31], v159 offset:20160
	ds_load_b128 v[148:151], v159 offset:28800
	ds_load_b128 v[100:103], v159 offset:30240
	ds_load_b128 v[136:139], v159 offset:8640
	ds_load_b128 v[104:107], v159 offset:10080
	ds_load_b128 v[120:123], v159 offset:23040
	ds_load_b128 v[92:95], v159 offset:24480
	ds_load_b128 v[96:99], v159 offset:31680
	ds_load_b128 v[112:115], v159 offset:17280
	ds_load_b128 v[88:91], v159 offset:18720
	ds_load_b128 v[108:111], v159 offset:11520
	ds_load_b128 v[32:35], v159 offset:12960
	ds_load_b128 v[177:180], v159 offset:5760
	ds_load_b128 v[181:184], v159 offset:25920
	ds_load_b128 v[185:188], v159 offset:27360
	ds_load_b128 v[189:192], v159 offset:33120
	ds_load_b128 v[193:196], v159 offset:34560
	ds_load_b128 v[197:200], v159
	ds_load_b128 v[201:204], v159 offset:4320
	s_wait_loadcnt_dscnt 0x1316
	v_mul_f64_e32 v[205:206], v[142:143], v[22:23]
	v_mul_f64_e32 v[22:23], v[140:141], v[22:23]
	s_wait_loadcnt_dscnt 0x1215
	v_mul_f64_e32 v[207:208], v[134:135], v[38:39]
	s_wait_loadcnt_dscnt 0x1113
	v_mul_f64_e32 v[209:210], v[146:147], v[62:63]
	v_mul_f64_e32 v[62:63], v[144:145], v[62:63]
	;; [unrolled: 1-line block ×3, first 2 shown]
	s_wait_loadcnt_dscnt 0x1011
	v_mul_f64_e32 v[211:212], v[150:151], v[82:83]
	v_mul_f64_e32 v[82:83], v[148:149], v[82:83]
	s_wait_loadcnt_dscnt 0xf0f
	v_mul_f64_e32 v[213:214], v[138:139], v[118:119]
	v_mul_f64_e32 v[118:119], v[136:137], v[118:119]
	s_wait_loadcnt 0xe
	v_mul_f64_e32 v[215:216], v[130:131], v[126:127]
	v_mul_f64_e32 v[126:127], v[128:129], v[126:127]
	s_wait_loadcnt_dscnt 0xd0d
	v_mul_f64_e32 v[217:218], v[122:123], v[46:47]
	v_mul_f64_e32 v[46:47], v[120:121], v[46:47]
	s_wait_loadcnt 0xc
	v_mul_f64_e32 v[219:220], v[102:103], v[42:43]
	v_mul_f64_e32 v[42:43], v[100:101], v[42:43]
	s_wait_loadcnt 0xb
	v_mul_f64_e32 v[221:222], v[106:107], v[54:55]
	v_mul_f64_e32 v[54:55], v[104:105], v[54:55]
	s_wait_loadcnt_dscnt 0xa0a
	v_mul_f64_e32 v[223:224], v[114:115], v[50:51]
	v_mul_f64_e32 v[50:51], v[112:113], v[50:51]
	s_wait_loadcnt 0x9
	v_mul_f64_e32 v[225:226], v[94:95], v[70:71]
	v_mul_f64_e32 v[70:71], v[92:93], v[70:71]
	v_fma_f64 v[140:141], v[140:141], v[20:21], -v[205:206]
	v_fma_f64 v[22:23], v[142:143], v[20:21], v[22:23]
	s_wait_loadcnt 0x8
	v_mul_f64_e32 v[142:143], v[98:99], v[86:87]
	v_mul_f64_e32 v[86:87], v[96:97], v[86:87]
	s_wait_loadcnt_dscnt 0x708
	v_mul_f64_e32 v[205:206], v[110:111], v[78:79]
	v_fma_f64 v[132:133], v[132:133], v[36:37], -v[207:208]
	v_mul_f64_e32 v[78:79], v[108:109], v[78:79]
	s_wait_loadcnt 0x6
	v_mul_f64_e32 v[207:208], v[90:91], v[74:75]
	v_mul_f64_e32 v[74:75], v[88:89], v[74:75]
	s_wait_loadcnt_dscnt 0x505
	v_mul_f64_e32 v[227:228], v[183:184], v[58:59]
	v_fma_f64 v[144:145], v[144:145], v[60:61], -v[209:210]
	v_fma_f64 v[60:61], v[146:147], v[60:61], v[62:63]
	v_mul_f64_e32 v[58:59], v[181:182], v[58:59]
	s_wait_loadcnt_dscnt 0x403
	v_mul_f64_e32 v[62:63], v[191:192], v[66:67]
	v_mul_f64_e32 v[66:67], v[189:190], v[66:67]
	s_wait_loadcnt 0x3
	v_mul_f64_e32 v[146:147], v[34:35], v[26:27]
	v_fma_f64 v[148:149], v[148:149], v[80:81], -v[211:212]
	v_fma_f64 v[80:81], v[150:151], v[80:81], v[82:83]
	v_mul_f64_e32 v[26:27], v[32:33], v[26:27]
	s_wait_loadcnt 0x2
	v_mul_f64_e32 v[82:83], v[30:31], v[18:19]
	v_mul_f64_e32 v[150:151], v[28:29], v[18:19]
	s_wait_loadcnt 0x1
	v_mul_f64_e32 v[209:210], v[187:188], v[14:15]
	v_fma_f64 v[136:137], v[136:137], v[116:117], -v[213:214]
	v_fma_f64 v[116:117], v[138:139], v[116:117], v[118:119]
	v_fma_f64 v[128:129], v[128:129], v[124:125], -v[215:216]
	v_fma_f64 v[124:125], v[130:131], v[124:125], v[126:127]
	;; [unrolled: 2-line block ×4, first 2 shown]
	v_mul_f64_e32 v[14:15], v[185:186], v[14:15]
	s_wait_loadcnt_dscnt 0x2
	v_mul_f64_e32 v[118:119], v[195:196], v[10:11]
	v_fma_f64 v[42:43], v[104:105], v[52:53], -v[221:222]
	v_fma_f64 v[52:53], v[106:107], v[52:53], v[54:55]
	v_fma_f64 v[54:55], v[112:113], v[48:49], -v[223:224]
	v_fma_f64 v[48:49], v[114:115], v[48:49], v[50:51]
	;; [unrolled: 2-line block ×3, first 2 shown]
	v_fma_f64 v[134:135], v[134:135], v[36:37], v[38:39]
	v_mul_f64_e32 v[10:11], v[193:194], v[10:11]
	v_fma_f64 v[70:71], v[96:97], v[84:85], -v[142:143]
	v_fma_f64 v[84:85], v[98:99], v[84:85], v[86:87]
	v_fma_f64 v[86:87], v[108:109], v[76:77], -v[205:206]
	ds_load_b128 v[18:21], v160
	ds_load_b128 v[36:39], v162
	v_fma_f64 v[76:77], v[110:111], v[76:77], v[78:79]
	v_fma_f64 v[78:79], v[88:89], v[72:73], -v[207:208]
	v_fma_f64 v[72:73], v[90:91], v[72:73], v[74:75]
	v_fma_f64 v[74:75], v[181:182], v[56:57], -v[227:228]
	v_and_b32_e32 v126, 0xffff, v172
	v_and_b32_e32 v127, 0xffff, v173
	v_fma_f64 v[56:57], v[183:184], v[56:57], v[58:59]
	v_fma_f64 v[62:63], v[189:190], v[64:65], -v[62:63]
	v_fma_f64 v[58:59], v[191:192], v[64:65], v[66:67]
	v_fma_f64 v[32:33], v[32:33], v[24:25], -v[146:147]
	v_add_f64_e64 v[64:65], v[148:149], -v[144:145]
	v_add_f64_e64 v[88:89], v[144:145], -v[148:149]
	v_fma_f64 v[24:25], v[34:35], v[24:25], v[26:27]
	v_fma_f64 v[26:27], v[28:29], v[16:17], -v[82:83]
	v_fma_f64 v[16:17], v[30:31], v[16:17], v[150:151]
	v_fma_f64 v[28:29], v[185:186], v[12:13], -v[209:210]
	v_add_f64_e64 v[34:35], v[140:141], -v[132:133]
	v_add_f64_e64 v[82:83], v[132:133], -v[140:141]
	;; [unrolled: 1-line block ×3, first 2 shown]
	s_wait_dscnt 0x3
	v_add_f64_e32 v[90:91], v[199:200], v[22:23]
	v_add_f64_e32 v[100:101], v[128:129], v[120:121]
	;; [unrolled: 1-line block ×5, first 2 shown]
	v_fma_f64 v[12:13], v[187:188], v[12:13], v[14:15]
	v_fma_f64 v[30:31], v[193:194], v[8:9], -v[118:119]
	v_add_f64_e32 v[14:15], v[132:133], v[144:145]
	v_add_f64_e32 v[66:67], v[140:141], v[148:149]
	;; [unrolled: 1-line block ×3, first 2 shown]
	v_add_f64_e64 v[110:111], v[60:61], -v[80:81]
	v_add_f64_e32 v[112:113], v[54:55], v[50:51]
	v_add_f64_e32 v[118:119], v[48:49], v[68:69]
	v_add_f64_e64 v[96:97], v[22:23], -v[134:135]
	v_fma_f64 v[8:9], v[195:196], v[8:9], v[10:11]
	v_add_f64_e32 v[114:115], v[42:43], v[70:71]
	v_add_f64_e32 v[122:123], v[52:53], v[84:85]
	;; [unrolled: 1-line block ×4, first 2 shown]
	v_add_f64_e64 v[108:109], v[134:135], -v[22:23]
	v_add_f64_e64 v[173:174], v[128:129], -v[136:137]
	;; [unrolled: 1-line block ×3, first 2 shown]
	v_add_f64_e32 v[138:139], v[78:79], v[74:75]
	v_mul_u32_u24_e32 v245, 0x960, v126
	v_mul_u32_u24_e32 v246, 0x960, v127
	v_add_f64_e32 v[146:147], v[72:73], v[56:57]
	v_add_f64_e32 v[142:143], v[86:87], v[62:63]
	;; [unrolled: 1-line block ×3, first 2 shown]
	s_wait_dscnt 0x0
	v_add_f64_e32 v[126:127], v[36:37], v[136:137]
	v_add_f64_e64 v[130:131], v[136:137], -v[128:129]
	v_add_f64_e64 v[171:172], v[46:47], -v[120:121]
	v_add_f64_e32 v[181:182], v[38:39], v[116:117]
	v_add_f64_e64 v[183:184], v[116:117], -v[124:125]
	v_add_f64_e64 v[185:186], v[40:41], -v[44:45]
	;; [unrolled: 3-line block ×4, first 2 shown]
	v_add_f64_e32 v[209:210], v[20:21], v[52:53]
	v_add_f64_e32 v[227:228], v[203:204], v[76:77]
	v_add_f64_e64 v[211:212], v[52:53], -v[48:49]
	v_add_f64_e64 v[213:214], v[84:85], -v[68:69]
	v_fma_f64 v[100:101], v[100:101], -0.5, v[36:37]
	v_fma_f64 v[36:37], v[102:103], -0.5, v[36:37]
	;; [unrolled: 1-line block ×4, first 2 shown]
	v_add_f64_e32 v[106:107], v[177:178], v[32:33]
	v_fma_f64 v[112:113], v[112:113], -0.5, v[18:19]
	v_add_f64_e64 v[205:206], v[54:55], -v[42:43]
	v_add_f64_e64 v[207:208], v[50:51], -v[70:71]
	v_add_f64_e32 v[34:35], v[34:35], v[64:65]
	v_fma_f64 v[18:19], v[114:115], -0.5, v[18:19]
	v_fma_f64 v[114:115], v[118:119], -0.5, v[20:21]
	v_add_f64_e32 v[118:119], v[26:27], v[28:29]
	v_fma_f64 v[20:21], v[122:123], -0.5, v[20:21]
	v_add_f64_e32 v[122:123], v[32:33], v[30:31]
	v_add_f64_e64 v[64:65], v[24:25], -v[16:17]
	v_add_f64_e32 v[82:83], v[82:83], v[88:89]
	v_add_f64_e64 v[88:89], v[8:9], -v[12:13]
	v_add_f64_e32 v[96:97], v[96:97], v[98:99]
	v_add_f64_e32 v[98:99], v[24:25], v[8:9]
	v_fma_f64 v[146:147], v[146:147], -0.5, v[203:204]
	v_fma_f64 v[14:15], v[14:15], -0.5, v[197:198]
	;; [unrolled: 1-line block ×3, first 2 shown]
	v_add_f64_e32 v[203:204], v[16:17], v[12:13]
	v_fma_f64 v[92:93], v[92:93], -0.5, v[199:200]
	v_fma_f64 v[138:139], v[138:139], -0.5, v[201:202]
	;; [unrolled: 1-line block ×3, first 2 shown]
	v_add_f64_e32 v[201:202], v[179:180], v[24:25]
	v_add_f64_e64 v[22:23], v[22:23], -v[80:81]
	v_add_f64_e64 v[140:141], v[140:141], -v[148:149]
	v_add_f64_e32 v[10:11], v[10:11], v[132:133]
	v_add_f64_e32 v[90:91], v[90:91], v[134:135]
	v_fma_f64 v[66:67], v[66:67], -0.5, v[197:198]
	v_fma_f64 v[94:95], v[94:95], -0.5, v[199:200]
	v_add_f64_e32 v[108:109], v[108:109], v[110:111]
	v_add_f64_e64 v[110:111], v[132:133], -v[144:145]
	v_add_f64_e32 v[173:174], v[173:174], v[175:176]
	v_add_f64_e64 v[175:176], v[134:135], -v[60:61]
	v_add_f64_e64 v[116:117], v[116:117], -v[40:41]
	;; [unrolled: 1-line block ×3, first 2 shown]
	v_add_f64_e32 v[126:127], v[126:127], v[128:129]
	v_add_f64_e32 v[130:131], v[130:131], v[171:172]
	v_add_f64_e64 v[171:172], v[16:17], -v[24:25]
	v_add_f64_e32 v[183:184], v[183:184], v[185:186]
	v_add_f64_e64 v[185:186], v[12:13], -v[8:9]
	v_add_f64_e64 v[132:133], v[124:125], -v[44:45]
	v_add_f64_e64 v[134:135], v[128:129], -v[120:121]
	v_add_f64_e32 v[124:125], v[181:182], v[124:125]
	v_add_f64_e64 v[215:216], v[48:49], -v[52:53]
	v_add_f64_e64 v[52:53], v[52:53], -v[84:85]
	;; [unrolled: 4-line block ×3, first 2 shown]
	v_add_f64_e32 v[24:25], v[191:192], v[54:55]
	v_add_f64_e32 v[54:55], v[219:220], v[78:79]
	v_add_f64_e64 v[231:232], v[76:77], -v[72:73]
	v_add_f64_e64 v[235:236], v[72:73], -v[76:77]
	v_add_f64_e32 v[187:188], v[187:188], v[189:190]
	v_add_f64_e64 v[189:190], v[48:49], -v[68:69]
	v_add_f64_e64 v[128:129], v[72:73], -v[56:57]
	v_add_f64_e32 v[48:49], v[209:210], v[48:49]
	v_add_f64_e32 v[72:73], v[227:228], v[72:73]
	v_add_f64_e64 v[199:200], v[26:27], -v[32:33]
	v_add_f64_e64 v[104:105], v[28:29], -v[30:31]
	v_add_f64_e64 v[221:222], v[86:87], -v[78:79]
	v_add_f64_e64 v[223:224], v[62:63], -v[74:75]
	v_add_f64_e64 v[225:226], v[78:79], -v[86:87]
	v_add_f64_e64 v[239:240], v[32:33], -v[26:27]
	v_add_f64_e64 v[76:77], v[76:77], -v[58:59]
	v_add_f64_e64 v[86:87], v[86:87], -v[62:63]
	v_add_f64_e32 v[211:212], v[211:212], v[213:214]
	v_add_f64_e64 v[213:214], v[26:27], -v[28:29]
	v_add_f64_e32 v[26:27], v[106:107], v[26:27]
	v_add_f64_e64 v[217:218], v[68:69], -v[84:85]
	v_add_f64_e64 v[229:230], v[74:75], -v[62:63]
	;; [unrolled: 1-line block ×5, first 2 shown]
	v_fma_f64 v[78:79], v[118:119], -0.5, v[177:178]
	v_fma_f64 v[118:119], v[203:204], -0.5, v[179:180]
	v_add_f64_e32 v[205:206], v[205:206], v[207:208]
	v_add_f64_e64 v[207:208], v[16:17], -v[12:13]
	v_fma_f64 v[106:107], v[122:123], -0.5, v[177:178]
	v_add_f64_e32 v[122:123], v[64:65], v[88:89]
	v_fma_f64 v[64:65], v[98:99], -0.5, v[179:180]
	v_add_f64_e32 v[16:17], v[201:202], v[16:17]
	v_add_f64_e32 v[10:11], v[10:11], v[144:145]
	;; [unrolled: 1-line block ×3, first 2 shown]
	v_fma_f64 v[88:89], v[22:23], s[12:13], v[14:15]
	v_fma_f64 v[90:91], v[22:23], s[14:15], v[14:15]
	;; [unrolled: 1-line block ×8, first 2 shown]
	v_add_f64_e32 v[120:121], v[126:127], v[120:121]
	v_fma_f64 v[126:127], v[116:117], s[12:13], v[100:101]
	v_fma_f64 v[179:180], v[136:137], s[14:15], v[102:103]
	v_add_f64_e32 v[171:172], v[171:172], v[185:186]
	v_add_f64_e32 v[44:45], v[124:125], v[44:45]
	v_fma_f64 v[124:125], v[132:133], s[14:15], v[36:37]
	v_fma_f64 v[185:186], v[134:135], s[12:13], v[38:39]
	v_fma_f64 v[36:37], v[132:133], s[12:13], v[36:37]
	v_fma_f64 v[38:39], v[134:135], s[14:15], v[38:39]
	v_fma_f64 v[100:101], v[116:117], s[14:15], v[100:101]
	v_fma_f64 v[102:103], v[136:137], s[12:13], v[102:103]
	v_add_f64_e32 v[24:25], v[24:25], v[50:51]
	v_fma_f64 v[50:51], v[52:53], s[12:13], v[112:113]
	v_add_f64_e32 v[54:55], v[54:55], v[74:75]
	v_fma_f64 v[74:75], v[42:43], s[14:15], v[114:115]
	v_add_f64_e64 v[237:238], v[56:57], -v[58:59]
	v_add_f64_e32 v[48:49], v[48:49], v[68:69]
	v_fma_f64 v[68:69], v[189:190], s[14:15], v[18:19]
	v_fma_f64 v[114:115], v[42:43], s[12:13], v[114:115]
	v_add_f64_e32 v[56:57], v[72:73], v[56:57]
	v_fma_f64 v[72:73], v[195:196], s[12:13], v[20:21]
	v_add_f64_e32 v[104:105], v[199:200], v[104:105]
	v_fma_f64 v[199:200], v[189:190], s[12:13], v[18:19]
	v_fma_f64 v[201:202], v[195:196], s[14:15], v[20:21]
	;; [unrolled: 1-line block ×3, first 2 shown]
	v_add_f64_e64 v[197:198], v[30:31], -v[28:29]
	v_add_f64_e32 v[191:192], v[221:222], v[223:224]
	v_add_f64_e32 v[28:29], v[26:27], v[28:29]
	v_fma_f64 v[26:27], v[76:77], s[12:13], v[138:139]
	v_fma_f64 v[223:224], v[86:87], s[14:15], v[146:147]
	v_add_f64_e32 v[215:216], v[215:216], v[217:218]
	v_add_f64_e32 v[217:218], v[225:226], v[229:230]
	v_fma_f64 v[138:139], v[76:77], s[14:15], v[138:139]
	v_fma_f64 v[219:220], v[128:129], s[14:15], v[142:143]
	;; [unrolled: 1-line block ×6, first 2 shown]
	v_add_f64_e32 v[209:210], v[231:232], v[233:234]
	v_fma_f64 v[227:228], v[241:242], s[12:13], v[78:79]
	v_fma_f64 v[231:232], v[32:33], s[14:15], v[118:119]
	v_fma_f64 v[229:230], v[207:208], s[14:15], v[106:107]
	v_fma_f64 v[233:234], v[213:214], s[12:13], v[64:65]
	v_fma_f64 v[106:107], v[207:208], s[12:13], v[106:107]
	v_fma_f64 v[64:65], v[213:214], s[14:15], v[64:65]
	v_fma_f64 v[78:79], v[241:242], s[14:15], v[78:79]
	v_fma_f64 v[118:119], v[32:33], s[12:13], v[118:119]
	v_add_f64_e32 v[203:204], v[16:17], v[12:13]
	v_add_f64_e32 v[12:13], v[10:11], v[148:149]
	;; [unrolled: 1-line block ×3, first 2 shown]
	v_fma_f64 v[10:11], v[175:176], s[6:7], v[88:89]
	s_wait_alu 0xfffe
	v_fma_f64 v[60:61], v[175:176], s[10:11], v[90:91]
	v_fma_f64 v[88:89], v[110:111], s[10:11], v[144:145]
	;; [unrolled: 1-line block ×8, first 2 shown]
	v_add_f64_e32 v[16:17], v[120:121], v[46:47]
	v_fma_f64 v[120:121], v[134:135], s[10:11], v[179:180]
	v_fma_f64 v[110:111], v[116:117], s[6:7], v[124:125]
	;; [unrolled: 1-line block ×7, first 2 shown]
	v_add_f64_e32 v[20:21], v[24:25], v[70:71]
	v_fma_f64 v[70:71], v[189:190], s[6:7], v[50:51]
	v_fma_f64 v[74:75], v[195:196], s[10:11], v[74:75]
	;; [unrolled: 1-line block ×3, first 2 shown]
	v_add_f64_e32 v[22:23], v[48:49], v[84:85]
	v_fma_f64 v[84:85], v[195:196], s[6:7], v[114:115]
	v_fma_f64 v[114:115], v[42:43], s[10:11], v[72:73]
	;; [unrolled: 1-line block ×7, first 2 shown]
	v_add_f64_e32 v[221:222], v[235:236], v[237:238]
	v_fma_f64 v[128:129], v[128:129], s[10:11], v[138:139]
	v_fma_f64 v[138:139], v[76:77], s[6:7], v[219:220]
	;; [unrolled: 1-line block ×6, first 2 shown]
	v_add_f64_e32 v[197:198], v[239:240], v[197:198]
	v_fma_f64 v[175:176], v[207:208], s[6:7], v[227:228]
	v_fma_f64 v[181:182], v[213:214], s[10:11], v[231:232]
	;; [unrolled: 1-line block ×11, first 2 shown]
	v_add_f64_e32 v[18:19], v[44:45], v[40:41]
	v_fma_f64 v[40:41], v[82:83], s[2:3], v[80:81]
	v_fma_f64 v[42:43], v[108:109], s[2:3], v[92:93]
	;; [unrolled: 1-line block ×7, first 2 shown]
	v_add_f64_e32 v[26:27], v[56:57], v[58:59]
	v_fma_f64 v[56:57], v[173:174], s[2:3], v[110:111]
	v_fma_f64 v[58:59], v[187:188], s[2:3], v[124:125]
	v_add_f64_e32 v[24:25], v[54:55], v[62:63]
	v_fma_f64 v[60:61], v[173:174], s[2:3], v[116:117]
	v_fma_f64 v[62:63], v[187:188], s[2:3], v[126:127]
	;; [unrolled: 1-line block ×20, first 2 shown]
	v_add_f64_e32 v[28:29], v[28:29], v[30:31]
	v_add_f64_e32 v[30:31], v[203:204], v[8:9]
	v_fma_f64 v[96:97], v[197:198], s[2:3], v[175:176]
	v_fma_f64 v[98:99], v[122:123], s[2:3], v[181:182]
	;; [unrolled: 1-line block ×8, first 2 shown]
	v_lshlrev_b32_e32 v108, 4, v167
	v_lshlrev_b32_e32 v109, 4, v168
	;; [unrolled: 1-line block ×4, first 2 shown]
	v_add3_u32 v112, 0, v245, v247
	global_wb scope:SCOPE_SE
	s_barrier_signal -1
	s_barrier_wait -1
	global_inv scope:SCOPE_SE
	v_add3_u32 v108, 0, v246, v108
	v_add3_u32 v109, 0, v166, v109
	;; [unrolled: 1-line block ×4, first 2 shown]
	ds_store_b128 v112, v[12:15]
	ds_store_b128 v112, v[32:35] offset:480
	ds_store_b128 v112, v[40:43] offset:960
	ds_store_b128 v112, v[44:47] offset:1440
	ds_store_b128 v112, v[36:39] offset:1920
	ds_store_b128 v108, v[16:19]
	ds_store_b128 v108, v[48:51] offset:480
	ds_store_b128 v108, v[56:59] offset:960
	ds_store_b128 v108, v[60:63] offset:1440
	ds_store_b128 v108, v[52:55] offset:1920
	;; [unrolled: 5-line block ×5, first 2 shown]
	global_wb scope:SCOPE_SE
	s_wait_dscnt 0x0
	s_barrier_signal -1
	s_barrier_wait -1
	global_inv scope:SCOPE_SE
	ds_load_b128 v[12:15], v162
	ds_load_b128 v[36:39], v160
	ds_load_b128 v[44:47], v159 offset:13440
	ds_load_b128 v[92:95], v159 offset:14880
	;; [unrolled: 1-line block ×20, first 2 shown]
	ds_load_b128 v[40:43], v159
	ds_load_b128 v[72:75], v159 offset:34080
	s_and_saveexec_b32 s2, s1
	s_cbranch_execz .LBB0_21
; %bb.20:
	ds_load_b128 v[0:3], v159 offset:23520
	ds_load_b128 v[8:11], v159 offset:11520
	;; [unrolled: 1-line block ×3, first 2 shown]
.LBB0_21:
	s_wait_alu 0xfffe
	s_or_b32 exec_lo, exec_lo, s2
	v_subrev_nc_u32_e32 v110, 60, v152
	v_cmp_gt_u32_e64 s2, 60, v152
	v_dual_mov_b32 v109, 0 :: v_dual_lshlrev_b32 v108, 1, v152
	v_lshrrev_b16 v125, 1, v158
	s_mov_b32 s6, 0xe8584caa
	s_wait_alu 0xf1ff
	v_cndmask_b32_e64 v110, v110, v157, s2
	s_mov_b32 s7, 0x3febb67a
	v_lshlrev_b64_e32 v[111:112], 4, v[108:109]
	v_mov_b32_e32 v114, v109
	v_add_nc_u32_e32 v108, 60, v108
	v_lshlrev_b32_e32 v113, 1, v110
	s_mov_b32 s3, 0xbfebb67a
	v_lshlrev_b32_e32 v110, 4, v110
	v_add_co_u32 v111, s2, s4, v111
	s_delay_alu instid0(VALU_DEP_3)
	v_lshlrev_b64_e32 v[113:114], 4, v[113:114]
	s_wait_alu 0xf1ff
	v_add_co_ci_u32_e64 v112, s2, s5, v112, s2
	v_lshlrev_b64_e32 v[115:116], 4, v[108:109]
	v_and_b32_e32 v108, 0xffff, v125
	v_lshrrev_b16 v125, 1, v153
	s_clause 0x1
	global_load_b128 v[117:120], v[111:112], off offset:2256
	global_load_b128 v[121:124], v[111:112], off offset:2240
	v_add_co_u32 v111, s2, s4, v113
	s_wait_alu 0xf1ff
	v_add_co_ci_u32_e64 v112, s2, s5, v114, s2
	v_add_co_u32 v113, s2, s4, v115
	v_and_b32_e32 v115, 0xffff, v125
	s_wait_alu 0xf1ff
	v_add_co_ci_u32_e64 v114, s2, s5, v116, s2
	s_clause 0x1
	global_load_b128 v[125:128], v[111:112], off offset:2256
	global_load_b128 v[129:132], v[111:112], off offset:2240
	v_lshrrev_b16 v111, 1, v165
	v_mul_u32_u24_e32 v108, 0xda75, v108
	v_mul_u32_u24_e32 v112, 0xda75, v115
	s_clause 0x1
	global_load_b128 v[133:136], v[113:114], off offset:2256
	global_load_b128 v[137:140], v[113:114], off offset:2240
	v_lshrrev_b16 v113, 1, v163
	v_and_b32_e32 v111, 0xffff, v111
	v_lshrrev_b32_e32 v114, 22, v108
	v_lshrrev_b32_e32 v108, 22, v112
	v_lshrrev_b16 v112, 1, v164
	v_and_b32_e32 v113, 0xffff, v113
	v_mul_u32_u24_e32 v111, 0xda75, v111
	v_mul_lo_u16 v115, 0x96, v114
	v_mul_lo_u16 v108, 0x96, v108
	v_and_b32_e32 v112, 0xffff, v112
	v_mul_u32_u24_e32 v113, 0xda75, v113
	v_lshrrev_b32_e32 v116, 22, v111
	v_sub_nc_u16 v115, v158, v115
	v_sub_nc_u16 v108, v153, v108
	v_mul_u32_u24_e32 v141, 0xda75, v112
	v_lshrrev_b32_e32 v111, 22, v113
	v_mul_lo_u16 v116, 0x96, v116
	v_and_b32_e32 v112, 0xffff, v115
	v_and_b32_e32 v113, 0xffff, v108
	v_lshrrev_b32_e32 v108, 22, v141
	v_mul_lo_u16 v115, 0x96, v111
	v_sub_nc_u16 v116, v165, v116
	v_lshlrev_b32_e32 v145, 5, v112
	v_lshlrev_b32_e32 v149, 5, v113
	v_mul_lo_u16 v108, 0x96, v108
	v_sub_nc_u16 v150, v163, v115
	v_and_b32_e32 v115, 0xffff, v116
	s_clause 0x1
	global_load_b128 v[141:144], v145, s[4:5] offset:2256
	global_load_b128 v[145:148], v145, s[4:5] offset:2240
	v_cmp_lt_u32_e64 s2, 59, v152
	v_sub_nc_u16 v108, v164, v108
	v_and_b32_e32 v116, 0xffff, v150
	v_lshlrev_b32_e32 v150, 5, v115
	s_clause 0x3
	global_load_b128 v[163:166], v149, s[4:5] offset:2240
	global_load_b128 v[167:170], v149, s[4:5] offset:2256
	global_load_b128 v[171:174], v150, s[4:5] offset:2240
	global_load_b128 v[175:178], v150, s[4:5] offset:2256
	v_and_b32_e32 v108, 0xffff, v108
	v_lshlrev_b32_e32 v149, 5, v116
	s_wait_alu 0xf1ff
	v_cndmask_b32_e64 v151, 0, 0x1c20, s2
	s_wait_alu 0xfffe
	s_mov_b32 s2, s6
	v_mul_u32_u24_e32 v114, 0x1c20, v114
	v_lshlrev_b32_e32 v150, 5, v108
	s_clause 0x3
	global_load_b128 v[179:182], v149, s[4:5] offset:2240
	global_load_b128 v[183:186], v149, s[4:5] offset:2256
	;; [unrolled: 1-line block ×4, first 2 shown]
	v_mul_u32_u24_e32 v111, 0x1c20, v111
	v_lshlrev_b32_e32 v112, 4, v112
	v_lshlrev_b32_e32 v116, 4, v116
	v_add3_u32 v110, 0, v151, v110
	v_lshl_add_u32 v113, v113, 4, 0
	v_lshl_add_u32 v115, v115, 4, 0
	;; [unrolled: 1-line block ×3, first 2 shown]
	global_wb scope:SCOPE_SE
	s_wait_loadcnt_dscnt 0x0
	s_barrier_signal -1
	s_barrier_wait -1
	global_inv scope:SCOPE_SE
	v_add3_u32 v112, 0, v114, v112
	v_add3_u32 v111, 0, v111, v116
	v_mul_f64_e32 v[195:196], v[106:107], v[119:120]
	v_mul_f64_e32 v[149:150], v[102:103], v[123:124]
	;; [unrolled: 1-line block ×12, first 2 shown]
	v_fma_f64 v[104:105], v[104:105], v[117:118], -v[195:196]
	v_fma_f64 v[100:101], v[100:101], v[121:122], -v[149:150]
	v_fma_f64 v[102:103], v[102:103], v[121:122], v[123:124]
	v_fma_f64 v[106:107], v[106:107], v[117:118], v[119:120]
	v_mul_f64_e32 v[207:208], v[82:83], v[143:144]
	v_mul_f64_e32 v[205:206], v[78:79], v[147:148]
	;; [unrolled: 1-line block ×12, first 2 shown]
	v_fma_f64 v[92:93], v[92:93], v[137:138], -v[197:198]
	v_fma_f64 v[94:95], v[94:95], v[137:138], v[139:140]
	v_fma_f64 v[96:97], v[96:97], v[133:134], -v[199:200]
	v_mul_f64_e32 v[217:218], v[62:63], v[181:182]
	v_mul_f64_e32 v[181:182], v[60:61], v[181:182]
	;; [unrolled: 1-line block ×8, first 2 shown]
	v_fma_f64 v[98:99], v[98:99], v[133:134], v[135:136]
	v_fma_f64 v[44:45], v[44:45], v[129:130], -v[201:202]
	v_fma_f64 v[46:47], v[46:47], v[129:130], v[131:132]
	v_fma_f64 v[48:49], v[48:49], v[125:126], -v[203:204]
	v_fma_f64 v[50:51], v[50:51], v[125:126], v[127:128]
	v_add_f64_e32 v[119:120], v[100:101], v[104:105]
	v_add_f64_e32 v[123:124], v[42:43], v[102:103]
	v_add_f64_e64 v[121:122], v[102:103], -v[106:107]
	v_fma_f64 v[80:81], v[80:81], v[141:142], -v[207:208]
	v_fma_f64 v[76:77], v[76:77], v[145:146], -v[205:206]
	v_fma_f64 v[78:79], v[78:79], v[145:146], v[147:148]
	v_fma_f64 v[82:83], v[82:83], v[141:142], v[143:144]
	v_add_f64_e32 v[102:103], v[102:103], v[106:107]
	v_fma_f64 v[52:53], v[52:53], v[163:164], -v[209:210]
	v_fma_f64 v[54:55], v[54:55], v[163:164], v[165:166]
	v_fma_f64 v[56:57], v[56:57], v[167:168], -v[211:212]
	v_fma_f64 v[58:59], v[58:59], v[167:168], v[169:170]
	;; [unrolled: 2-line block ×4, first 2 shown]
	v_add_f64_e32 v[117:118], v[40:41], v[100:101]
	v_add_f64_e32 v[131:132], v[38:39], v[94:95]
	;; [unrolled: 1-line block ×3, first 2 shown]
	v_fma_f64 v[60:61], v[60:61], v[179:180], -v[217:218]
	v_fma_f64 v[62:63], v[62:63], v[179:180], v[181:182]
	v_fma_f64 v[64:65], v[64:65], v[183:184], -v[219:220]
	v_fma_f64 v[66:67], v[66:67], v[183:184], v[185:186]
	v_fma_f64 v[68:69], v[68:69], v[187:188], -v[221:222]
	v_fma_f64 v[70:71], v[70:71], v[187:188], v[189:190]
	v_fma_f64 v[72:73], v[72:73], v[191:192], -v[223:224]
	v_fma_f64 v[74:75], v[74:75], v[191:192], v[193:194]
	v_add_f64_e64 v[129:130], v[94:95], -v[98:99]
	v_add_f64_e32 v[94:95], v[94:95], v[98:99]
	v_add_f64_e32 v[125:126], v[36:37], v[92:93]
	;; [unrolled: 1-line block ×5, first 2 shown]
	v_add_f64_e64 v[145:146], v[44:45], -v[48:49]
	v_add_f64_e64 v[100:101], v[100:101], -v[104:105]
	v_add_f64_e64 v[139:140], v[46:47], -v[50:51]
	v_add_f64_e32 v[46:47], v[14:15], v[46:47]
	v_add_f64_e64 v[92:93], v[92:93], -v[96:97]
	v_fma_f64 v[119:120], v[119:120], -0.5, v[40:41]
	v_add_f64_e32 v[141:142], v[76:77], v[80:81]
	v_add_f64_e32 v[147:148], v[24:25], v[76:77]
	;; [unrolled: 1-line block ×3, first 2 shown]
	v_fma_f64 v[102:103], v[102:103], -0.5, v[42:43]
	v_add_f64_e32 v[171:172], v[16:17], v[52:53]
	v_add_f64_e64 v[163:164], v[78:79], -v[82:83]
	v_add_f64_e32 v[44:45], v[52:53], v[56:57]
	v_add_f64_e32 v[149:150], v[54:55], v[58:59]
	v_add_f64_e64 v[175:176], v[54:55], -v[58:59]
	v_add_f64_e32 v[54:55], v[18:19], v[54:55]
	v_add_f64_e32 v[165:166], v[84:85], v[88:89]
	;; [unrolled: 1-line block ×3, first 2 shown]
	v_add_f64_e64 v[181:182], v[52:53], -v[56:57]
	v_add_f64_e32 v[52:53], v[28:29], v[84:85]
	v_add_f64_e64 v[193:194], v[84:85], -v[88:89]
	v_fma_f64 v[84:85], v[127:128], -0.5, v[36:37]
	v_add_f64_e32 v[187:188], v[22:23], v[62:63]
	v_add_f64_e32 v[169:170], v[60:61], v[64:65]
	;; [unrolled: 1-line block ×3, first 2 shown]
	v_add_f64_e64 v[127:128], v[62:63], -v[66:67]
	v_add_f64_e32 v[191:192], v[34:35], v[70:71]
	v_add_f64_e32 v[177:178], v[68:69], v[72:73]
	;; [unrolled: 1-line block ×4, first 2 shown]
	v_fma_f64 v[62:63], v[94:95], -0.5, v[38:39]
	v_add_f64_e32 v[78:79], v[26:27], v[78:79]
	v_fma_f64 v[94:95], v[133:134], -0.5, v[12:13]
	v_add_f64_e64 v[133:134], v[70:71], -v[74:75]
	v_fma_f64 v[70:71], v[137:138], -0.5, v[14:15]
	v_add_f64_e64 v[76:77], v[76:77], -v[80:81]
	v_add_f64_e32 v[12:13], v[117:118], v[104:105]
	v_add_f64_e32 v[189:190], v[32:33], v[68:69]
	;; [unrolled: 1-line block ×4, first 2 shown]
	v_add_f64_e64 v[86:87], v[86:87], -v[90:91]
	v_add_f64_e64 v[195:196], v[60:61], -v[64:65]
	;; [unrolled: 1-line block ×3, first 2 shown]
	v_fma_f64 v[141:142], v[141:142], -0.5, v[24:25]
	v_add_f64_e32 v[24:25], v[135:136], v[48:49]
	v_fma_f64 v[104:105], v[143:144], -0.5, v[26:27]
	v_add_f64_e32 v[26:27], v[46:47], v[50:51]
	s_wait_alu 0xfffe
	v_fma_f64 v[46:47], v[100:101], s[2:3], v[102:103]
	v_fma_f64 v[48:49], v[121:122], s[2:3], v[119:120]
	v_fma_f64 v[106:107], v[44:45], -0.5, v[16:17]
	v_add_f64_e32 v[16:17], v[125:126], v[96:97]
	v_fma_f64 v[96:97], v[149:150], -0.5, v[18:19]
	v_add_f64_e32 v[18:19], v[131:132], v[98:99]
	v_fma_f64 v[98:99], v[165:166], -0.5, v[28:29]
	v_fma_f64 v[117:118], v[167:168], -0.5, v[30:31]
	v_fma_f64 v[44:45], v[121:122], s[6:7], v[119:120]
	v_fma_f64 v[50:51], v[100:101], s[6:7], v[102:103]
	v_add_f64_e32 v[30:31], v[54:55], v[58:59]
	v_add_f64_e32 v[28:29], v[171:172], v[56:57]
	;; [unrolled: 1-line block ×3, first 2 shown]
	v_fma_f64 v[123:124], v[169:170], -0.5, v[20:21]
	v_fma_f64 v[125:126], v[173:174], -0.5, v[22:23]
	v_fma_f64 v[56:57], v[129:130], s[2:3], v[84:85]
	v_add_f64_e32 v[20:21], v[147:148], v[80:81]
	v_fma_f64 v[131:132], v[177:178], -0.5, v[32:33]
	v_fma_f64 v[135:136], v[179:180], -0.5, v[34:35]
	v_add_f64_e32 v[36:37], v[185:186], v[64:65]
	v_fma_f64 v[54:55], v[92:93], s[2:3], v[62:63]
	v_fma_f64 v[58:59], v[92:93], s[6:7], v[62:63]
	;; [unrolled: 1-line block ×6, first 2 shown]
	v_add_f64_e32 v[32:33], v[52:53], v[88:89]
	v_fma_f64 v[52:53], v[129:130], s[6:7], v[84:85]
	v_add_f64_e32 v[22:23], v[78:79], v[82:83]
	v_add_f64_e32 v[40:41], v[189:190], v[72:73]
	;; [unrolled: 1-line block ×4, first 2 shown]
	v_fma_f64 v[68:69], v[163:164], s[6:7], v[141:142]
	v_fma_f64 v[72:73], v[163:164], s[2:3], v[141:142]
	;; [unrolled: 1-line block ×20, first 2 shown]
	ds_store_b128 v159, v[12:15]
	ds_store_b128 v159, v[44:47] offset:2400
	ds_store_b128 v159, v[48:51] offset:4800
	ds_store_b128 v110, v[24:27]
	ds_store_b128 v110, v[60:63] offset:2400
	ds_store_b128 v110, v[64:67] offset:4800
	;; [unrolled: 1-line block ×5, first 2 shown]
	ds_store_b128 v112, v[20:23]
	ds_store_b128 v112, v[68:71] offset:2400
	ds_store_b128 v112, v[72:75] offset:4800
	;; [unrolled: 1-line block ×8, first 2 shown]
	ds_store_b128 v111, v[36:39]
	ds_store_b128 v111, v[92:95] offset:2400
	ds_store_b128 v111, v[96:99] offset:4800
	;; [unrolled: 1-line block ×5, first 2 shown]
	s_and_saveexec_b32 s10, s1
	s_cbranch_execz .LBB0_23
; %bb.22:
	v_lshrrev_b16 v12, 1, v161
	s_delay_alu instid0(VALU_DEP_1) | instskip(NEXT) | instid1(VALU_DEP_1)
	v_and_b32_e32 v12, 0xffff, v12
	v_mul_u32_u24_e32 v12, 0xda75, v12
	s_delay_alu instid0(VALU_DEP_1) | instskip(NEXT) | instid1(VALU_DEP_1)
	v_lshrrev_b32_e32 v12, 22, v12
	v_mul_lo_u16 v12, 0x96, v12
	s_delay_alu instid0(VALU_DEP_1) | instskip(NEXT) | instid1(VALU_DEP_1)
	v_sub_nc_u16 v12, v161, v12
	v_and_b32_e32 v24, 0xffff, v12
	s_delay_alu instid0(VALU_DEP_1)
	v_lshlrev_b32_e32 v16, 5, v24
	s_clause 0x1
	global_load_b128 v[12:15], v16, s[4:5] offset:2240
	global_load_b128 v[16:19], v16, s[4:5] offset:2256
	s_wait_loadcnt 0x1
	v_mul_f64_e32 v[20:21], v[2:3], v[14:15]
	v_mul_f64_e32 v[14:15], v[0:1], v[14:15]
	s_wait_loadcnt 0x0
	v_mul_f64_e32 v[22:23], v[4:5], v[18:19]
	v_mul_f64_e32 v[18:19], v[6:7], v[18:19]
	s_delay_alu instid0(VALU_DEP_4) | instskip(NEXT) | instid1(VALU_DEP_4)
	v_fma_f64 v[0:1], v[0:1], v[12:13], -v[20:21]
	v_fma_f64 v[2:3], v[2:3], v[12:13], v[14:15]
	s_delay_alu instid0(VALU_DEP_4) | instskip(NEXT) | instid1(VALU_DEP_4)
	v_fma_f64 v[6:7], v[6:7], v[16:17], v[22:23]
	v_fma_f64 v[4:5], v[4:5], v[16:17], -v[18:19]
	s_delay_alu instid0(VALU_DEP_3) | instskip(NEXT) | instid1(VALU_DEP_3)
	v_add_f64_e32 v[18:19], v[10:11], v[2:3]
	v_add_f64_e32 v[12:13], v[2:3], v[6:7]
	s_delay_alu instid0(VALU_DEP_3)
	v_add_f64_e32 v[14:15], v[0:1], v[4:5]
	v_add_f64_e64 v[16:17], v[0:1], -v[4:5]
	v_add_f64_e64 v[20:21], v[2:3], -v[6:7]
	v_add_f64_e32 v[0:1], v[8:9], v[0:1]
	v_add_f64_e32 v[2:3], v[18:19], v[6:7]
	v_fma_f64 v[10:11], v[12:13], -0.5, v[10:11]
	v_fma_f64 v[8:9], v[14:15], -0.5, v[8:9]
	v_lshl_add_u32 v12, v24, 4, 0
	v_add_f64_e32 v[0:1], v[0:1], v[4:5]
	s_delay_alu instid0(VALU_DEP_4) | instskip(NEXT) | instid1(VALU_DEP_4)
	v_fma_f64 v[6:7], v[16:17], s[2:3], v[10:11]
	v_fma_f64 v[4:5], v[20:21], s[6:7], v[8:9]
	;; [unrolled: 1-line block ×4, first 2 shown]
	ds_store_b128 v12, v[4:7] offset:31200
	ds_store_b128 v12, v[0:3] offset:28800
	;; [unrolled: 1-line block ×3, first 2 shown]
.LBB0_23:
	s_wait_alu 0xfffe
	s_or_b32 exec_lo, exec_lo, s10
	v_lshlrev_b32_e32 v108, 2, v152
	global_wb scope:SCOPE_SE
	s_wait_dscnt 0x0
	s_barrier_signal -1
	s_barrier_wait -1
	global_inv scope:SCOPE_SE
	v_lshlrev_b64_e32 v[0:1], 4, v[108:109]
	v_lshlrev_b32_e32 v108, 2, v157
	s_mov_b32 s10, 0x134454ff
	s_mov_b32 s11, 0x3fee6f0e
	s_wait_alu 0xfffe
	s_mov_b32 s14, s10
	s_mov_b32 s6, 0x4755a5e
	v_lshlrev_b64_e32 v[2:3], 4, v[108:109]
	v_add_co_u32 v0, s1, s4, v0
	s_wait_alu 0xf1ff
	v_add_co_ci_u32_e64 v1, s1, s5, v1, s1
	v_lshlrev_b32_e32 v108, 2, v156
	s_delay_alu instid0(VALU_DEP_4)
	v_add_co_u32 v2, s1, s4, v2
	s_wait_alu 0xf1ff
	v_add_co_ci_u32_e64 v3, s1, s5, v3, s1
	s_clause 0x5
	global_load_b128 v[20:23], v[0:1], off offset:7040
	global_load_b128 v[24:27], v[0:1], off offset:7056
	;; [unrolled: 1-line block ×6, first 2 shown]
	v_lshlrev_b64_e32 v[4:5], 4, v[108:109]
	v_lshlrev_b32_e32 v108, 2, v158
	s_mov_b32 s7, 0x3fe2cf23
	s_mov_b32 s13, 0xbfe2cf23
	s_wait_alu 0xfffe
	s_mov_b32 s12, s6
	s_mov_b32 s2, 0x372fe950
	v_add_co_u32 v0, s1, s4, v4
	s_wait_alu 0xf1ff
	v_add_co_ci_u32_e64 v1, s1, s5, v5, s1
	v_lshlrev_b64_e32 v[4:5], 4, v[108:109]
	v_lshlrev_b32_e32 v108, 2, v153
	s_clause 0x4
	global_load_b128 v[44:47], v[2:3], off offset:7088
	global_load_b128 v[48:51], v[2:3], off offset:7072
	;; [unrolled: 1-line block ×5, first 2 shown]
	s_mov_b32 s3, 0x3fd3c6ef
	v_add_co_u32 v2, s1, s4, v4
	s_wait_alu 0xf1ff
	v_add_co_ci_u32_e64 v3, s1, s5, v5, s1
	v_lshlrev_b64_e32 v[4:5], 4, v[108:109]
	s_clause 0x3
	global_load_b128 v[64:67], v[0:1], off offset:7088
	global_load_b128 v[68:71], v[2:3], off offset:7040
	;; [unrolled: 1-line block ×4, first 2 shown]
	v_add_co_u32 v0, s1, s4, v4
	s_wait_alu 0xf1ff
	v_add_co_ci_u32_e64 v1, s1, s5, v5, s1
	s_clause 0x4
	global_load_b128 v[80:83], v[2:3], off offset:7088
	global_load_b128 v[84:87], v[0:1], off offset:7040
	;; [unrolled: 1-line block ×5, first 2 shown]
	ds_load_b128 v[100:103], v159 offset:7200
	ds_load_b128 v[104:107], v159 offset:21600
	;; [unrolled: 1-line block ×6, first 2 shown]
	ds_load_b128 v[12:15], v162
	ds_load_b128 v[4:7], v160
	ds_load_b128 v[124:127], v159 offset:8640
	ds_load_b128 v[128:131], v159 offset:10080
	;; [unrolled: 1-line block ×6, first 2 shown]
	ds_load_b128 v[16:19], v159
	ds_load_b128 v[8:11], v159 offset:4320
	ds_load_b128 v[144:147], v159 offset:17280
	;; [unrolled: 1-line block ×10, first 2 shown]
	global_wb scope:SCOPE_SE
	s_wait_loadcnt_dscnt 0x0
	s_barrier_signal -1
	s_barrier_wait -1
	global_inv scope:SCOPE_SE
	v_mul_f64_e32 v[195:196], v[106:107], v[30:31]
	v_mul_f64_e32 v[191:192], v[102:103], v[22:23]
	;; [unrolled: 1-line block ×31, first 2 shown]
	v_fma_f64 v[104:105], v[104:105], v[28:29], -v[195:196]
	v_fma_f64 v[100:101], v[100:101], v[20:21], -v[191:192]
	v_fma_f64 v[102:103], v[102:103], v[20:21], v[22:23]
	v_mul_f64_e32 v[20:21], v[183:184], v[82:83]
	v_mul_f64_e32 v[82:83], v[173:174], v[86:87]
	;; [unrolled: 1-line block ×4, first 2 shown]
	v_fma_f64 v[108:109], v[108:109], v[24:25], -v[193:194]
	v_fma_f64 v[110:111], v[110:111], v[24:25], v[26:27]
	v_mul_f64_e32 v[26:27], v[163:164], v[90:91]
	v_mul_f64_e32 v[90:91], v[181:182], v[94:95]
	;; [unrolled: 1-line block ×3, first 2 shown]
	v_fma_f64 v[106:107], v[106:107], v[28:29], v[30:31]
	v_fma_f64 v[28:29], v[118:119], v[32:33], v[34:35]
	v_fma_f64 v[38:39], v[116:117], v[32:33], -v[197:198]
	v_mul_f64_e32 v[193:194], v[189:190], v[98:99]
	v_mul_f64_e32 v[98:99], v[187:188], v[98:99]
	v_fma_f64 v[116:117], v[124:125], v[40:41], -v[199:200]
	v_fma_f64 v[40:41], v[126:127], v[40:41], v[42:43]
	v_fma_f64 v[42:43], v[112:113], v[36:37], -v[201:202]
	v_fma_f64 v[112:113], v[114:115], v[36:37], v[203:204]
	;; [unrolled: 2-line block ×11, first 2 shown]
	v_fma_f64 v[32:33], v[183:184], v[80:81], -v[223:224]
	v_add_f64_e32 v[118:119], v[18:19], v[102:103]
	v_fma_f64 v[22:23], v[185:186], v[80:81], v[20:21]
	v_fma_f64 v[70:71], v[171:172], v[84:85], -v[82:83]
	v_fma_f64 v[72:73], v[173:174], v[84:85], v[86:87]
	v_fma_f64 v[74:75], v[163:164], v[88:89], -v[191:192]
	v_add_f64_e32 v[84:85], v[108:109], v[104:105]
	v_add_f64_e32 v[82:83], v[16:17], v[100:101]
	v_fma_f64 v[76:77], v[165:166], v[88:89], v[26:27]
	v_fma_f64 v[78:79], v[179:180], v[92:93], -v[90:91]
	v_fma_f64 v[80:81], v[181:182], v[92:93], v[94:95]
	v_add_f64_e32 v[120:121], v[110:111], v[106:107]
	v_add_f64_e32 v[128:129], v[102:103], v[28:29]
	;; [unrolled: 1-line block ×3, first 2 shown]
	v_fma_f64 v[26:27], v[187:188], v[96:97], -v[193:194]
	v_fma_f64 v[20:21], v[189:190], v[96:97], v[98:99]
	v_add_f64_e64 v[90:91], v[100:101], -v[108:109]
	v_add_f64_e64 v[92:93], v[38:39], -v[104:105]
	;; [unrolled: 1-line block ×4, first 2 shown]
	v_add_f64_e32 v[132:133], v[12:13], v[116:117]
	v_add_f64_e32 v[134:135], v[42:43], v[114:115]
	v_add_f64_e32 v[144:145], v[116:117], v[36:37]
	v_add_f64_e32 v[150:151], v[14:15], v[40:41]
	v_add_f64_e32 v[163:164], v[112:113], v[48:49]
	v_add_f64_e32 v[171:172], v[40:41], v[30:31]
	v_add_f64_e64 v[86:87], v[102:103], -v[28:29]
	v_add_f64_e64 v[124:125], v[102:103], -v[110:111]
	;; [unrolled: 1-line block ×10, first 2 shown]
	v_add_f64_e32 v[175:176], v[4:5], v[44:45]
	v_add_f64_e32 v[177:178], v[50:51], v[54:55]
	;; [unrolled: 1-line block ×6, first 2 shown]
	v_add_f64_e64 v[169:170], v[30:31], -v[48:49]
	v_add_f64_e64 v[179:180], v[46:47], -v[24:25]
	v_add_f64_e64 v[199:200], v[46:47], -v[52:53]
	v_add_f64_e64 v[46:47], v[52:53], -v[46:47]
	v_add_f64_e64 v[205:206], v[56:57], -v[24:25]
	v_add_f64_e32 v[207:208], v[8:9], v[58:59]
	v_add_f64_e32 v[209:210], v[62:63], v[66:67]
	v_add_f64_e32 v[225:226], v[10:11], v[60:61]
	v_add_f64_e32 v[227:228], v[64:65], v[68:69]
	v_add_f64_e64 v[126:127], v[28:29], -v[106:107]
	v_add_f64_e64 v[146:147], v[42:43], -v[116:117]
	;; [unrolled: 1-line block ×6, first 2 shown]
	v_add_f64_e32 v[219:220], v[58:59], v[32:33]
	v_add_f64_e64 v[229:230], v[60:61], -v[64:65]
	v_add_f64_e32 v[233:234], v[60:61], v[22:23]
	v_add_f64_e64 v[60:61], v[64:65], -v[60:61]
	v_add_f64_e64 v[235:236], v[68:69], -v[22:23]
	v_add_f64_e32 v[239:240], v[0:1], v[70:71]
	v_add_f64_e32 v[241:242], v[74:75], v[78:79]
	v_fma_f64 v[84:85], v[84:85], -0.5, v[16:17]
	v_fma_f64 v[16:17], v[94:95], -0.5, v[16:17]
	;; [unrolled: 1-line block ×4, first 2 shown]
	v_add_f64_e32 v[120:121], v[2:3], v[72:73]
	v_add_f64_e32 v[128:129], v[76:77], v[80:81]
	v_add_f64_e64 v[122:123], v[108:109], -v[104:105]
	v_add_f64_e32 v[247:248], v[70:71], v[26:27]
	v_add_f64_e32 v[82:83], v[82:83], v[108:109]
	;; [unrolled: 1-line block ×3, first 2 shown]
	v_add_f64_e64 v[100:101], v[100:101], -v[38:39]
	v_add_f64_e32 v[90:91], v[90:91], v[92:93]
	v_add_f64_e64 v[92:93], v[76:77], -v[72:73]
	v_add_f64_e32 v[96:97], v[96:97], v[98:99]
	v_add_f64_e64 v[98:99], v[80:81], -v[20:21]
	v_add_f64_e64 v[88:89], v[110:111], -v[106:107]
	v_add_f64_e32 v[110:111], v[118:119], v[110:111]
	v_add_f64_e64 v[138:139], v[112:113], -v[48:49]
	v_add_f64_e64 v[116:117], v[116:117], -v[36:37]
	;; [unrolled: 1-line block ×3, first 2 shown]
	v_fma_f64 v[134:135], v[134:135], -0.5, v[12:13]
	v_fma_f64 v[12:13], v[144:145], -0.5, v[12:13]
	;; [unrolled: 1-line block ×3, first 2 shown]
	v_add_f64_e32 v[42:43], v[132:133], v[42:43]
	v_add_f64_e32 v[112:113], v[150:151], v[112:113]
	v_fma_f64 v[14:15], v[171:172], -0.5, v[14:15]
	v_add_f64_e64 v[163:164], v[72:73], -v[76:77]
	v_add_f64_e64 v[171:172], v[20:21], -v[80:81]
	;; [unrolled: 1-line block ×6, first 2 shown]
	v_add_f64_e32 v[102:103], v[102:103], v[130:131]
	v_add_f64_e32 v[130:131], v[140:141], v[142:143]
	;; [unrolled: 1-line block ×4, first 2 shown]
	v_fma_f64 v[50:51], v[177:178], -0.5, v[4:5]
	v_add_f64_e32 v[52:53], v[193:194], v[52:53]
	v_fma_f64 v[150:151], v[195:196], -0.5, v[6:7]
	v_add_f64_e64 v[191:192], v[54:55], -v[34:35]
	v_fma_f64 v[4:5], v[187:188], -0.5, v[4:5]
	v_fma_f64 v[6:7], v[203:204], -0.5, v[6:7]
	v_add_f64_e64 v[201:202], v[24:25], -v[56:57]
	v_add_f64_e64 v[213:214], v[64:65], -v[68:69]
	;; [unrolled: 1-line block ×6, first 2 shown]
	v_add_f64_e32 v[140:141], v[167:168], v[169:170]
	v_add_f64_e32 v[169:170], v[46:47], v[205:206]
	;; [unrolled: 1-line block ×3, first 2 shown]
	v_fma_f64 v[62:63], v[209:210], -0.5, v[8:9]
	v_add_f64_e32 v[64:65], v[225:226], v[64:65]
	v_fma_f64 v[177:178], v[227:228], -0.5, v[10:11]
	v_add_f64_e64 v[243:244], v[70:71], -v[74:75]
	v_add_f64_e64 v[249:250], v[74:75], -v[70:71]
	;; [unrolled: 1-line block ×5, first 2 shown]
	v_add_f64_e32 v[124:125], v[124:125], v[126:127]
	v_add_f64_e64 v[126:127], v[74:75], -v[78:79]
	v_add_f64_e32 v[132:133], v[146:147], v[148:149]
	v_add_f64_e32 v[146:147], v[183:184], v[185:186]
	v_fma_f64 v[8:9], v[219:220], -0.5, v[8:9]
	v_add_f64_e32 v[185:186], v[60:61], v[235:236]
	v_add_f64_e32 v[60:61], v[239:240], v[74:75]
	v_fma_f64 v[74:75], v[241:242], -0.5, v[0:1]
	v_add_f64_e32 v[76:77], v[120:121], v[76:77]
	v_fma_f64 v[120:121], v[128:129], -0.5, v[2:3]
	v_fma_f64 v[10:11], v[233:234], -0.5, v[10:11]
	v_add_f64_e64 v[217:218], v[32:33], -v[66:67]
	v_fma_f64 v[0:1], v[247:248], -0.5, v[0:1]
	v_fma_f64 v[2:3], v[108:109], -0.5, v[2:3]
	v_add_f64_e32 v[98:99], v[92:93], v[98:99]
	v_add_f64_e32 v[82:83], v[82:83], v[104:105]
	v_fma_f64 v[92:93], v[86:87], s[10:11], v[84:85]
	v_fma_f64 v[84:85], v[86:87], s[14:15], v[84:85]
	;; [unrolled: 1-line block ×4, first 2 shown]
	v_add_f64_e32 v[106:107], v[110:111], v[106:107]
	v_fma_f64 v[94:95], v[100:101], s[10:11], v[94:95]
	v_fma_f64 v[110:111], v[122:123], s[10:11], v[18:19]
	;; [unrolled: 1-line block ×4, first 2 shown]
	v_add_f64_e32 v[42:43], v[42:43], v[114:115]
	v_fma_f64 v[114:115], v[136:137], s[10:11], v[134:135]
	v_add_f64_e32 v[48:49], v[112:113], v[48:49]
	v_fma_f64 v[112:113], v[116:117], s[14:15], v[144:145]
	;; [unrolled: 2-line block ×3, first 2 shown]
	v_fma_f64 v[171:172], v[165:166], s[10:11], v[14:15]
	v_fma_f64 v[12:13], v[138:139], s[10:11], v[12:13]
	;; [unrolled: 1-line block ×5, first 2 shown]
	v_add_f64_e32 v[40:41], v[40:41], v[54:55]
	v_fma_f64 v[54:55], v[179:180], s[10:11], v[50:51]
	v_add_f64_e32 v[52:53], v[52:53], v[56:57]
	v_fma_f64 v[56:57], v[44:45], s[14:15], v[150:151]
	v_add_f64_e32 v[148:149], v[189:190], v[191:192]
	v_fma_f64 v[191:192], v[181:182], s[14:15], v[4:5]
	v_fma_f64 v[195:196], v[197:198], s[10:11], v[6:7]
	v_add_f64_e32 v[167:168], v[199:200], v[201:202]
	v_fma_f64 v[193:194], v[181:182], s[10:11], v[4:5]
	v_fma_f64 v[150:151], v[44:45], s[10:11], v[150:151]
	;; [unrolled: 1-line block ×4, first 2 shown]
	v_add_f64_e64 v[223:224], v[66:67], -v[32:33]
	v_add_f64_e64 v[231:232], v[22:23], -v[68:69]
	v_add_f64_e32 v[46:47], v[46:47], v[66:67]
	v_fma_f64 v[66:67], v[211:212], s[10:11], v[62:63]
	v_add_f64_e32 v[64:65], v[64:65], v[68:69]
	v_fma_f64 v[68:69], v[58:59], s[14:15], v[177:178]
	v_add_f64_e64 v[245:246], v[26:27], -v[78:79]
	v_add_f64_e64 v[251:252], v[78:79], -v[26:27]
	v_fma_f64 v[201:202], v[213:214], s[14:15], v[8:9]
	v_add_f64_e32 v[60:61], v[60:61], v[78:79]
	v_fma_f64 v[78:79], v[72:73], s[10:11], v[74:75]
	v_add_f64_e32 v[76:77], v[76:77], v[80:81]
	v_fma_f64 v[80:81], v[70:71], s[14:15], v[120:121]
	v_fma_f64 v[205:206], v[237:238], s[10:11], v[10:11]
	v_add_f64_e32 v[173:174], v[215:216], v[217:218]
	v_fma_f64 v[203:204], v[213:214], s[10:11], v[8:9]
	v_fma_f64 v[209:210], v[118:119], s[14:15], v[0:1]
	;; [unrolled: 1-line block ×10, first 2 shown]
	v_add_f64_e32 v[0:1], v[82:83], v[38:39]
	v_fma_f64 v[38:39], v[88:89], s[6:7], v[92:93]
	s_wait_alu 0xfffe
	v_fma_f64 v[82:83], v[88:89], s[12:13], v[84:85]
	v_fma_f64 v[88:89], v[122:123], s[12:13], v[108:109]
	;; [unrolled: 1-line block ×7, first 2 shown]
	v_add_f64_e32 v[4:5], v[42:43], v[36:37]
	v_fma_f64 v[36:37], v[138:139], s[6:7], v[114:115]
	v_fma_f64 v[108:109], v[165:166], s[12:13], v[112:113]
	;; [unrolled: 1-line block ×4, first 2 shown]
	v_add_f64_e32 v[2:3], v[106:107], v[28:29]
	v_fma_f64 v[106:107], v[136:137], s[12:13], v[12:13]
	v_fma_f64 v[114:115], v[116:117], s[6:7], v[14:15]
	;; [unrolled: 1-line block ×12, first 2 shown]
	v_add_f64_e32 v[183:184], v[229:230], v[231:232]
	v_fma_f64 v[163:164], v[213:214], s[6:7], v[66:67]
	v_fma_f64 v[181:182], v[237:238], s[12:13], v[68:69]
	v_add_f64_e32 v[187:188], v[243:244], v[245:246]
	v_fma_f64 v[171:172], v[211:212], s[6:7], v[201:202]
	v_fma_f64 v[195:196], v[118:119], s[6:7], v[78:79]
	;; [unrolled: 1-line block ×3, first 2 shown]
	v_add_f64_e32 v[175:176], v[221:222], v[223:224]
	v_fma_f64 v[191:192], v[58:59], s[12:13], v[205:206]
	v_add_f64_e32 v[189:190], v[249:250], v[251:252]
	v_fma_f64 v[179:180], v[211:212], s[12:13], v[203:204]
	v_fma_f64 v[197:198], v[72:73], s[6:7], v[209:210]
	;; [unrolled: 1-line block ×10, first 2 shown]
	v_add_f64_e32 v[14:15], v[64:65], v[22:23]
	v_add_f64_e32 v[18:19], v[76:77], v[20:21]
	v_fma_f64 v[20:21], v[90:91], s[2:3], v[38:39]
	v_fma_f64 v[22:23], v[124:125], s[2:3], v[88:89]
	v_add_f64_e32 v[6:7], v[48:49], v[30:31]
	v_fma_f64 v[28:29], v[96:97], s[2:3], v[84:85]
	v_fma_f64 v[30:31], v[102:103], s[2:3], v[94:95]
	v_add_f64_e32 v[8:9], v[40:41], v[34:35]
	v_add_f64_e32 v[12:13], v[46:47], v[32:33]
	v_fma_f64 v[32:33], v[96:97], s[2:3], v[86:87]
	v_fma_f64 v[34:35], v[102:103], s[2:3], v[100:101]
	v_add_f64_e32 v[10:11], v[52:53], v[24:25]
	v_add_f64_e32 v[16:17], v[60:61], v[26:27]
	v_fma_f64 v[24:25], v[90:91], s[2:3], v[82:83]
	v_fma_f64 v[26:27], v[124:125], s[2:3], v[92:93]
	;; [unrolled: 1-line block ×34, first 2 shown]
	ds_store_b128 v159, v[0:3]
	ds_store_b128 v159, v[20:23] offset:7200
	ds_store_b128 v159, v[28:31] offset:14400
	ds_store_b128 v159, v[32:35] offset:21600
	ds_store_b128 v159, v[24:27] offset:28800
	ds_store_b128 v162, v[4:7]
	ds_store_b128 v162, v[36:39] offset:7200
	ds_store_b128 v162, v[44:47] offset:14400
	ds_store_b128 v162, v[48:51] offset:21600
	ds_store_b128 v162, v[40:43] offset:28800
	;; [unrolled: 5-line block ×3, first 2 shown]
	ds_store_b128 v159, v[12:15] offset:4320
	ds_store_b128 v159, v[16:19] offset:5760
	ds_store_b128 v159, v[68:71] offset:11520
	ds_store_b128 v159, v[84:87] offset:12960
	ds_store_b128 v159, v[76:79] offset:18720
	ds_store_b128 v159, v[88:91] offset:20160
	ds_store_b128 v159, v[80:83] offset:25920
	ds_store_b128 v159, v[92:95] offset:27360
	ds_store_b128 v159, v[72:75] offset:33120
	ds_store_b128 v159, v[96:99] offset:34560
	global_wb scope:SCOPE_SE
	s_wait_dscnt 0x0
	s_barrier_signal -1
	s_barrier_wait -1
	global_inv scope:SCOPE_SE
	ds_load_b128 v[4:7], v159
	v_lshlrev_b32_e32 v0, 4, v152
	s_mov_b32 s2, exec_lo
                                        ; implicit-def: $vgpr2_vgpr3
                                        ; implicit-def: $vgpr10_vgpr11
                                        ; implicit-def: $vgpr8_vgpr9
	s_delay_alu instid0(VALU_DEP_1)
	v_sub_nc_u32_e32 v12, 0, v0
	v_cmpx_ne_u32_e32 0, v152
	s_wait_alu 0xfffe
	s_xor_b32 s2, exec_lo, s2
	s_cbranch_execz .LBB0_25
; %bb.24:
	v_mov_b32_e32 v153, 0
	s_delay_alu instid0(VALU_DEP_1) | instskip(NEXT) | instid1(VALU_DEP_1)
	v_lshlrev_b64_e32 v[0:1], 4, v[152:153]
	v_add_co_u32 v0, s1, s4, v0
	s_wait_alu 0xf1ff
	s_delay_alu instid0(VALU_DEP_2)
	v_add_co_ci_u32_e64 v1, s1, s5, v1, s1
	global_load_b128 v[8:11], v[0:1], off offset:35840
	ds_load_b128 v[0:3], v12 offset:36000
	s_wait_dscnt 0x0
	v_add_f64_e64 v[13:14], v[4:5], -v[0:1]
	v_add_f64_e32 v[15:16], v[6:7], v[2:3]
	v_add_f64_e64 v[2:3], v[6:7], -v[2:3]
	v_add_f64_e32 v[0:1], v[4:5], v[0:1]
	s_delay_alu instid0(VALU_DEP_4) | instskip(NEXT) | instid1(VALU_DEP_4)
	v_mul_f64_e32 v[6:7], 0.5, v[13:14]
	v_mul_f64_e32 v[4:5], 0.5, v[15:16]
	s_delay_alu instid0(VALU_DEP_4) | instskip(SKIP_1) | instid1(VALU_DEP_3)
	v_mul_f64_e32 v[2:3], 0.5, v[2:3]
	s_wait_loadcnt 0x0
	v_mul_f64_e32 v[13:14], v[6:7], v[10:11]
	s_delay_alu instid0(VALU_DEP_2) | instskip(SKIP_1) | instid1(VALU_DEP_3)
	v_fma_f64 v[15:16], v[4:5], v[10:11], v[2:3]
	v_fma_f64 v[2:3], v[4:5], v[10:11], -v[2:3]
	v_fma_f64 v[17:18], v[0:1], 0.5, v[13:14]
	v_fma_f64 v[0:1], v[0:1], 0.5, -v[13:14]
	s_delay_alu instid0(VALU_DEP_4) | instskip(NEXT) | instid1(VALU_DEP_4)
	v_fma_f64 v[10:11], -v[8:9], v[6:7], v[15:16]
	v_fma_f64 v[2:3], -v[8:9], v[6:7], v[2:3]
	s_delay_alu instid0(VALU_DEP_4) | instskip(NEXT) | instid1(VALU_DEP_4)
	v_fma_f64 v[13:14], v[4:5], v[8:9], v[17:18]
	v_fma_f64 v[0:1], -v[4:5], v[8:9], v[0:1]
	v_dual_mov_b32 v8, v152 :: v_dual_mov_b32 v9, v153
                                        ; implicit-def: $vgpr4_vgpr5
	ds_store_b64 v159, v[13:14]
.LBB0_25:
	s_wait_alu 0xfffe
	s_and_not1_saveexec_b32 s1, s2
	s_cbranch_execz .LBB0_27
; %bb.26:
	s_wait_dscnt 0x0
	v_add_f64_e32 v[13:14], v[4:5], v[6:7]
	v_add_f64_e64 v[0:1], v[4:5], -v[6:7]
	v_mov_b32_e32 v6, 0
	v_mov_b32_e32 v10, 0
	v_dual_mov_b32 v11, 0 :: v_dual_mov_b32 v8, 0
	s_delay_alu instid0(VALU_DEP_2)
	v_mov_b32_e32 v2, v10
	ds_load_b64 v[4:5], v6 offset:18008
	v_mov_b32_e32 v9, 0
	v_mov_b32_e32 v3, v11
	s_wait_dscnt 0x0
	v_xor_b32_e32 v5, 0x80000000, v5
	ds_store_b64 v159, v[13:14]
	ds_store_b64 v6, v[4:5] offset:18008
.LBB0_27:
	s_wait_alu 0xfffe
	s_or_b32 exec_lo, exec_lo, s1
	v_mov_b32_e32 v158, 0
	s_add_nc_u64 s[2:3], s[4:5], 0x8c00
	s_wait_dscnt 0x0
	s_delay_alu instid0(VALU_DEP_1) | instskip(SKIP_1) | instid1(VALU_DEP_1)
	v_lshlrev_b64_e32 v[4:5], 4, v[157:158]
	v_mov_b32_e32 v157, v158
	v_lshlrev_b64_e32 v[13:14], 4, v[156:157]
	s_delay_alu instid0(VALU_DEP_3) | instskip(SKIP_1) | instid1(VALU_DEP_4)
	v_add_co_u32 v4, s1, s4, v4
	s_wait_alu 0xf1ff
	v_add_co_ci_u32_e64 v5, s1, s5, v5, s1
	s_delay_alu instid0(VALU_DEP_3)
	v_add_co_u32 v13, s1, s4, v13
	global_load_b128 v[4:7], v[4:5], off offset:35840
	s_wait_alu 0xf1ff
	v_add_co_ci_u32_e64 v14, s1, s5, v14, s1
	global_load_b128 v[13:16], v[13:14], off offset:35840
	ds_store_b64 v159, v[10:11] offset:8
	ds_store_b128 v12, v[0:3] offset:36000
	ds_load_b128 v[0:3], v162
	ds_load_b128 v[17:20], v12 offset:34560
	s_wait_dscnt 0x0
	v_add_f64_e64 v[10:11], v[0:1], -v[17:18]
	v_add_f64_e32 v[21:22], v[2:3], v[19:20]
	v_add_f64_e64 v[2:3], v[2:3], -v[19:20]
	v_add_f64_e32 v[0:1], v[0:1], v[17:18]
	s_delay_alu instid0(VALU_DEP_4) | instskip(NEXT) | instid1(VALU_DEP_4)
	v_mul_f64_e32 v[10:11], 0.5, v[10:11]
	v_mul_f64_e32 v[21:22], 0.5, v[21:22]
	s_delay_alu instid0(VALU_DEP_4) | instskip(SKIP_1) | instid1(VALU_DEP_3)
	v_mul_f64_e32 v[2:3], 0.5, v[2:3]
	s_wait_loadcnt 0x1
	v_mul_f64_e32 v[17:18], v[10:11], v[6:7]
	s_delay_alu instid0(VALU_DEP_2) | instskip(SKIP_1) | instid1(VALU_DEP_3)
	v_fma_f64 v[19:20], v[21:22], v[6:7], v[2:3]
	v_fma_f64 v[2:3], v[21:22], v[6:7], -v[2:3]
	v_fma_f64 v[23:24], v[0:1], 0.5, v[17:18]
	v_fma_f64 v[0:1], v[0:1], 0.5, -v[17:18]
	s_delay_alu instid0(VALU_DEP_4) | instskip(NEXT) | instid1(VALU_DEP_4)
	v_fma_f64 v[19:20], -v[4:5], v[10:11], v[19:20]
	v_fma_f64 v[6:7], -v[4:5], v[10:11], v[2:3]
	s_delay_alu instid0(VALU_DEP_4) | instskip(NEXT) | instid1(VALU_DEP_4)
	v_fma_f64 v[17:18], v[21:22], v[4:5], v[23:24]
	v_fma_f64 v[4:5], -v[21:22], v[4:5], v[0:1]
	v_lshlrev_b64_e32 v[0:1], 4, v[8:9]
	s_wait_alu 0xfffe
	s_delay_alu instid0(VALU_DEP_1) | instskip(SKIP_1) | instid1(VALU_DEP_2)
	v_add_co_u32 v2, s1, s2, v0
	s_wait_alu 0xf1ff
	v_add_co_ci_u32_e64 v3, s1, s3, v1, s1
	global_load_b128 v[8:11], v[2:3], off offset:4320
	ds_store_b128 v162, v[17:20]
	ds_store_b128 v12, v[4:7] offset:34560
	ds_load_b128 v[4:7], v160
	ds_load_b128 v[17:20], v12 offset:33120
	s_wait_dscnt 0x0
	v_add_f64_e64 v[21:22], v[4:5], -v[17:18]
	v_add_f64_e32 v[23:24], v[6:7], v[19:20]
	v_add_f64_e64 v[6:7], v[6:7], -v[19:20]
	v_add_f64_e32 v[4:5], v[4:5], v[17:18]
	s_delay_alu instid0(VALU_DEP_4) | instskip(NEXT) | instid1(VALU_DEP_4)
	v_mul_f64_e32 v[19:20], 0.5, v[21:22]
	v_mul_f64_e32 v[21:22], 0.5, v[23:24]
	s_delay_alu instid0(VALU_DEP_4) | instskip(SKIP_1) | instid1(VALU_DEP_3)
	v_mul_f64_e32 v[6:7], 0.5, v[6:7]
	s_wait_loadcnt 0x1
	v_mul_f64_e32 v[17:18], v[19:20], v[15:16]
	s_delay_alu instid0(VALU_DEP_2) | instskip(SKIP_1) | instid1(VALU_DEP_3)
	v_fma_f64 v[23:24], v[21:22], v[15:16], v[6:7]
	v_fma_f64 v[15:16], v[21:22], v[15:16], -v[6:7]
	v_fma_f64 v[25:26], v[4:5], 0.5, v[17:18]
	v_fma_f64 v[17:18], v[4:5], 0.5, -v[17:18]
	s_delay_alu instid0(VALU_DEP_4) | instskip(NEXT) | instid1(VALU_DEP_4)
	v_fma_f64 v[6:7], -v[13:14], v[19:20], v[23:24]
	v_fma_f64 v[15:16], -v[13:14], v[19:20], v[15:16]
	s_delay_alu instid0(VALU_DEP_4) | instskip(NEXT) | instid1(VALU_DEP_4)
	v_fma_f64 v[4:5], v[21:22], v[13:14], v[25:26]
	v_fma_f64 v[13:14], -v[21:22], v[13:14], v[17:18]
	global_load_b128 v[17:20], v[2:3], off offset:5760
	ds_store_b128 v160, v[4:7]
	ds_store_b128 v12, v[13:16] offset:33120
	ds_load_b128 v[4:7], v159 offset:4320
	ds_load_b128 v[13:16], v12 offset:31680
	s_wait_dscnt 0x0
	v_add_f64_e64 v[21:22], v[4:5], -v[13:14]
	v_add_f64_e32 v[23:24], v[6:7], v[15:16]
	v_add_f64_e64 v[6:7], v[6:7], -v[15:16]
	v_add_f64_e32 v[4:5], v[4:5], v[13:14]
	s_delay_alu instid0(VALU_DEP_4) | instskip(NEXT) | instid1(VALU_DEP_4)
	v_mul_f64_e32 v[15:16], 0.5, v[21:22]
	v_mul_f64_e32 v[21:22], 0.5, v[23:24]
	s_delay_alu instid0(VALU_DEP_4) | instskip(SKIP_1) | instid1(VALU_DEP_3)
	v_mul_f64_e32 v[6:7], 0.5, v[6:7]
	s_wait_loadcnt 0x1
	v_mul_f64_e32 v[13:14], v[15:16], v[10:11]
	s_delay_alu instid0(VALU_DEP_2) | instskip(SKIP_1) | instid1(VALU_DEP_3)
	v_fma_f64 v[23:24], v[21:22], v[10:11], v[6:7]
	v_fma_f64 v[10:11], v[21:22], v[10:11], -v[6:7]
	v_fma_f64 v[25:26], v[4:5], 0.5, v[13:14]
	v_fma_f64 v[13:14], v[4:5], 0.5, -v[13:14]
	s_delay_alu instid0(VALU_DEP_4) | instskip(NEXT) | instid1(VALU_DEP_4)
	v_fma_f64 v[6:7], -v[8:9], v[15:16], v[23:24]
	v_fma_f64 v[10:11], -v[8:9], v[15:16], v[10:11]
	s_delay_alu instid0(VALU_DEP_4) | instskip(NEXT) | instid1(VALU_DEP_4)
	v_fma_f64 v[4:5], v[21:22], v[8:9], v[25:26]
	v_fma_f64 v[8:9], -v[21:22], v[8:9], v[13:14]
	global_load_b128 v[13:16], v[2:3], off offset:7200
	ds_store_b128 v159, v[4:7] offset:4320
	ds_store_b128 v12, v[8:11] offset:31680
	ds_load_b128 v[4:7], v159 offset:5760
	ds_load_b128 v[8:11], v12 offset:30240
	s_wait_dscnt 0x0
	v_add_f64_e64 v[21:22], v[4:5], -v[8:9]
	v_add_f64_e32 v[23:24], v[6:7], v[10:11]
	v_add_f64_e64 v[6:7], v[6:7], -v[10:11]
	v_add_f64_e32 v[4:5], v[4:5], v[8:9]
	s_delay_alu instid0(VALU_DEP_4) | instskip(NEXT) | instid1(VALU_DEP_4)
	v_mul_f64_e32 v[10:11], 0.5, v[21:22]
	v_mul_f64_e32 v[21:22], 0.5, v[23:24]
	s_delay_alu instid0(VALU_DEP_4) | instskip(SKIP_1) | instid1(VALU_DEP_3)
	v_mul_f64_e32 v[6:7], 0.5, v[6:7]
	s_wait_loadcnt 0x1
	v_mul_f64_e32 v[8:9], v[10:11], v[19:20]
	s_delay_alu instid0(VALU_DEP_2) | instskip(SKIP_1) | instid1(VALU_DEP_3)
	v_fma_f64 v[23:24], v[21:22], v[19:20], v[6:7]
	v_fma_f64 v[19:20], v[21:22], v[19:20], -v[6:7]
	v_fma_f64 v[25:26], v[4:5], 0.5, v[8:9]
	v_fma_f64 v[8:9], v[4:5], 0.5, -v[8:9]
	s_delay_alu instid0(VALU_DEP_4) | instskip(NEXT) | instid1(VALU_DEP_4)
	v_fma_f64 v[6:7], -v[17:18], v[10:11], v[23:24]
	v_fma_f64 v[10:11], -v[17:18], v[10:11], v[19:20]
	s_delay_alu instid0(VALU_DEP_4) | instskip(NEXT) | instid1(VALU_DEP_4)
	v_fma_f64 v[4:5], v[21:22], v[17:18], v[25:26]
	v_fma_f64 v[8:9], -v[21:22], v[17:18], v[8:9]
	global_load_b128 v[17:20], v[2:3], off offset:8640
	ds_store_b128 v159, v[4:7] offset:5760
	;; [unrolled: 28-line block ×7, first 2 shown]
	ds_store_b128 v12, v[8:11] offset:23040
	ds_load_b128 v[4:7], v159 offset:14400
	ds_load_b128 v[8:11], v12 offset:21600
	s_wait_dscnt 0x0
	v_add_f64_e64 v[21:22], v[4:5], -v[8:9]
	v_add_f64_e32 v[23:24], v[6:7], v[10:11]
	v_add_f64_e64 v[6:7], v[6:7], -v[10:11]
	v_add_f64_e32 v[4:5], v[4:5], v[8:9]
	s_delay_alu instid0(VALU_DEP_4) | instskip(NEXT) | instid1(VALU_DEP_4)
	v_mul_f64_e32 v[10:11], 0.5, v[21:22]
	v_mul_f64_e32 v[21:22], 0.5, v[23:24]
	s_delay_alu instid0(VALU_DEP_4) | instskip(SKIP_1) | instid1(VALU_DEP_3)
	v_mul_f64_e32 v[6:7], 0.5, v[6:7]
	s_wait_loadcnt 0x1
	v_mul_f64_e32 v[8:9], v[10:11], v[19:20]
	s_delay_alu instid0(VALU_DEP_2) | instskip(SKIP_1) | instid1(VALU_DEP_3)
	v_fma_f64 v[23:24], v[21:22], v[19:20], v[6:7]
	v_fma_f64 v[19:20], v[21:22], v[19:20], -v[6:7]
	v_fma_f64 v[25:26], v[4:5], 0.5, v[8:9]
	v_fma_f64 v[8:9], v[4:5], 0.5, -v[8:9]
	s_delay_alu instid0(VALU_DEP_4) | instskip(NEXT) | instid1(VALU_DEP_4)
	v_fma_f64 v[6:7], -v[17:18], v[10:11], v[23:24]
	v_fma_f64 v[10:11], -v[17:18], v[10:11], v[19:20]
	s_delay_alu instid0(VALU_DEP_4) | instskip(NEXT) | instid1(VALU_DEP_4)
	v_fma_f64 v[4:5], v[21:22], v[17:18], v[25:26]
	v_fma_f64 v[8:9], -v[21:22], v[17:18], v[8:9]
	ds_store_b128 v159, v[4:7] offset:14400
	ds_store_b128 v12, v[8:11] offset:21600
	ds_load_b128 v[4:7], v159 offset:15840
	ds_load_b128 v[8:11], v12 offset:20160
	s_wait_dscnt 0x0
	v_add_f64_e64 v[17:18], v[4:5], -v[8:9]
	v_add_f64_e32 v[19:20], v[6:7], v[10:11]
	v_add_f64_e64 v[6:7], v[6:7], -v[10:11]
	v_add_f64_e32 v[4:5], v[4:5], v[8:9]
	s_delay_alu instid0(VALU_DEP_4) | instskip(NEXT) | instid1(VALU_DEP_4)
	v_mul_f64_e32 v[10:11], 0.5, v[17:18]
	v_mul_f64_e32 v[17:18], 0.5, v[19:20]
	s_delay_alu instid0(VALU_DEP_4) | instskip(SKIP_1) | instid1(VALU_DEP_3)
	v_mul_f64_e32 v[6:7], 0.5, v[6:7]
	s_wait_loadcnt 0x0
	v_mul_f64_e32 v[8:9], v[10:11], v[15:16]
	s_delay_alu instid0(VALU_DEP_2) | instskip(SKIP_1) | instid1(VALU_DEP_3)
	v_fma_f64 v[19:20], v[17:18], v[15:16], v[6:7]
	v_fma_f64 v[15:16], v[17:18], v[15:16], -v[6:7]
	v_fma_f64 v[21:22], v[4:5], 0.5, v[8:9]
	v_fma_f64 v[8:9], v[4:5], 0.5, -v[8:9]
	s_delay_alu instid0(VALU_DEP_4) | instskip(NEXT) | instid1(VALU_DEP_4)
	v_fma_f64 v[6:7], -v[13:14], v[10:11], v[19:20]
	v_fma_f64 v[10:11], -v[13:14], v[10:11], v[15:16]
	s_delay_alu instid0(VALU_DEP_4) | instskip(NEXT) | instid1(VALU_DEP_4)
	v_fma_f64 v[4:5], v[17:18], v[13:14], v[21:22]
	v_fma_f64 v[8:9], -v[17:18], v[13:14], v[8:9]
	ds_store_b128 v159, v[4:7] offset:15840
	ds_store_b128 v12, v[8:11] offset:20160
	s_and_saveexec_b32 s1, s0
	s_cbranch_execz .LBB0_29
; %bb.28:
	global_load_b128 v[2:5], v[2:3], off offset:17280
	ds_load_b128 v[6:9], v159 offset:17280
	ds_load_b128 v[13:16], v12 offset:18720
	s_wait_dscnt 0x0
	v_add_f64_e64 v[10:11], v[6:7], -v[13:14]
	v_add_f64_e32 v[17:18], v[8:9], v[15:16]
	v_add_f64_e64 v[8:9], v[8:9], -v[15:16]
	v_add_f64_e32 v[6:7], v[6:7], v[13:14]
	s_delay_alu instid0(VALU_DEP_4) | instskip(NEXT) | instid1(VALU_DEP_4)
	v_mul_f64_e32 v[10:11], 0.5, v[10:11]
	v_mul_f64_e32 v[15:16], 0.5, v[17:18]
	s_delay_alu instid0(VALU_DEP_4) | instskip(SKIP_1) | instid1(VALU_DEP_3)
	v_mul_f64_e32 v[8:9], 0.5, v[8:9]
	s_wait_loadcnt 0x0
	v_mul_f64_e32 v[13:14], v[10:11], v[4:5]
	s_delay_alu instid0(VALU_DEP_2) | instskip(SKIP_1) | instid1(VALU_DEP_3)
	v_fma_f64 v[17:18], v[15:16], v[4:5], v[8:9]
	v_fma_f64 v[4:5], v[15:16], v[4:5], -v[8:9]
	v_fma_f64 v[8:9], v[6:7], 0.5, v[13:14]
	v_fma_f64 v[13:14], v[6:7], 0.5, -v[13:14]
	s_delay_alu instid0(VALU_DEP_4) | instskip(NEXT) | instid1(VALU_DEP_4)
	v_fma_f64 v[6:7], -v[2:3], v[10:11], v[17:18]
	v_fma_f64 v[10:11], -v[2:3], v[10:11], v[4:5]
	s_delay_alu instid0(VALU_DEP_4) | instskip(NEXT) | instid1(VALU_DEP_4)
	v_fma_f64 v[4:5], v[15:16], v[2:3], v[8:9]
	v_fma_f64 v[8:9], -v[15:16], v[2:3], v[13:14]
	ds_store_b128 v159, v[4:7] offset:17280
	ds_store_b128 v12, v[8:11] offset:18720
.LBB0_29:
	s_wait_alu 0xfffe
	s_or_b32 exec_lo, exec_lo, s1
	global_wb scope:SCOPE_SE
	s_wait_dscnt 0x0
	s_barrier_signal -1
	s_barrier_wait -1
	global_inv scope:SCOPE_SE
	s_and_saveexec_b32 s0, vcc_lo
	s_cbranch_execz .LBB0_32
; %bb.30:
	ds_load_b128 v[4:7], v159
	ds_load_b128 v[8:11], v159 offset:1440
	ds_load_b128 v[12:15], v159 offset:2880
	;; [unrolled: 1-line block ×7, first 2 shown]
	v_add_co_u32 v2, vcc_lo, s8, v154
	s_wait_alu 0xfffd
	v_add_co_ci_u32_e32 v3, vcc_lo, s9, v155, vcc_lo
	s_delay_alu instid0(VALU_DEP_2) | instskip(SKIP_1) | instid1(VALU_DEP_2)
	v_add_co_u32 v0, vcc_lo, v2, v0
	s_wait_alu 0xfffd
	v_add_co_ci_u32_e32 v1, vcc_lo, v3, v1, vcc_lo
	v_cmp_eq_u32_e32 vcc_lo, 0x59, v152
	s_wait_dscnt 0x7
	global_store_b128 v[0:1], v[4:7], off
	s_wait_dscnt 0x6
	global_store_b128 v[0:1], v[8:11], off offset:1440
	s_wait_dscnt 0x5
	global_store_b128 v[0:1], v[12:15], off offset:2880
	;; [unrolled: 2-line block ×3, first 2 shown]
	ds_load_b128 v[4:7], v159 offset:11520
	ds_load_b128 v[8:11], v159 offset:12960
	;; [unrolled: 1-line block ×12, first 2 shown]
	s_wait_dscnt 0xf
	global_store_b128 v[0:1], v[20:23], off offset:5760
	s_wait_dscnt 0xe
	global_store_b128 v[0:1], v[24:27], off offset:7200
	ds_load_b128 v[20:23], v159 offset:28800
	ds_load_b128 v[24:27], v159 offset:30240
	;; [unrolled: 1-line block ×5, first 2 shown]
	s_wait_dscnt 0x12
	global_store_b128 v[0:1], v[28:31], off offset:8640
	s_wait_dscnt 0x11
	global_store_b128 v[0:1], v[32:35], off offset:10080
	;; [unrolled: 2-line block ×19, first 2 shown]
	s_and_b32 exec_lo, exec_lo, vcc_lo
	s_cbranch_execz .LBB0_32
; %bb.31:
	v_mov_b32_e32 v0, 0
	ds_load_b128 v[4:7], v0 offset:36000
	s_wait_dscnt 0x0
	global_store_b128 v[2:3], v[4:7], off offset:36000
.LBB0_32:
	s_nop 0
	s_sendmsg sendmsg(MSG_DEALLOC_VGPRS)
	s_endpgm
	.section	.rodata,"a",@progbits
	.p2align	6, 0x0
	.amdhsa_kernel fft_rtc_fwd_len2250_factors_10_3_5_3_5_wgs_90_tpt_90_halfLds_dp_ip_CI_unitstride_sbrr_R2C_dirReg
		.amdhsa_group_segment_fixed_size 0
		.amdhsa_private_segment_fixed_size 0
		.amdhsa_kernarg_size 88
		.amdhsa_user_sgpr_count 2
		.amdhsa_user_sgpr_dispatch_ptr 0
		.amdhsa_user_sgpr_queue_ptr 0
		.amdhsa_user_sgpr_kernarg_segment_ptr 1
		.amdhsa_user_sgpr_dispatch_id 0
		.amdhsa_user_sgpr_private_segment_size 0
		.amdhsa_wavefront_size32 1
		.amdhsa_uses_dynamic_stack 0
		.amdhsa_enable_private_segment 0
		.amdhsa_system_sgpr_workgroup_id_x 1
		.amdhsa_system_sgpr_workgroup_id_y 0
		.amdhsa_system_sgpr_workgroup_id_z 0
		.amdhsa_system_sgpr_workgroup_info 0
		.amdhsa_system_vgpr_workitem_id 0
		.amdhsa_next_free_vgpr 253
		.amdhsa_next_free_sgpr 32
		.amdhsa_reserve_vcc 1
		.amdhsa_float_round_mode_32 0
		.amdhsa_float_round_mode_16_64 0
		.amdhsa_float_denorm_mode_32 3
		.amdhsa_float_denorm_mode_16_64 3
		.amdhsa_fp16_overflow 0
		.amdhsa_workgroup_processor_mode 1
		.amdhsa_memory_ordered 1
		.amdhsa_forward_progress 0
		.amdhsa_round_robin_scheduling 0
		.amdhsa_exception_fp_ieee_invalid_op 0
		.amdhsa_exception_fp_denorm_src 0
		.amdhsa_exception_fp_ieee_div_zero 0
		.amdhsa_exception_fp_ieee_overflow 0
		.amdhsa_exception_fp_ieee_underflow 0
		.amdhsa_exception_fp_ieee_inexact 0
		.amdhsa_exception_int_div_zero 0
	.end_amdhsa_kernel
	.text
.Lfunc_end0:
	.size	fft_rtc_fwd_len2250_factors_10_3_5_3_5_wgs_90_tpt_90_halfLds_dp_ip_CI_unitstride_sbrr_R2C_dirReg, .Lfunc_end0-fft_rtc_fwd_len2250_factors_10_3_5_3_5_wgs_90_tpt_90_halfLds_dp_ip_CI_unitstride_sbrr_R2C_dirReg
                                        ; -- End function
	.section	.AMDGPU.csdata,"",@progbits
; Kernel info:
; codeLenInByte = 21600
; NumSgprs: 34
; NumVgprs: 253
; ScratchSize: 0
; MemoryBound: 0
; FloatMode: 240
; IeeeMode: 1
; LDSByteSize: 0 bytes/workgroup (compile time only)
; SGPRBlocks: 4
; VGPRBlocks: 31
; NumSGPRsForWavesPerEU: 34
; NumVGPRsForWavesPerEU: 253
; Occupancy: 5
; WaveLimiterHint : 1
; COMPUTE_PGM_RSRC2:SCRATCH_EN: 0
; COMPUTE_PGM_RSRC2:USER_SGPR: 2
; COMPUTE_PGM_RSRC2:TRAP_HANDLER: 0
; COMPUTE_PGM_RSRC2:TGID_X_EN: 1
; COMPUTE_PGM_RSRC2:TGID_Y_EN: 0
; COMPUTE_PGM_RSRC2:TGID_Z_EN: 0
; COMPUTE_PGM_RSRC2:TIDIG_COMP_CNT: 0
	.text
	.p2alignl 7, 3214868480
	.fill 96, 4, 3214868480
	.type	__hip_cuid_dbd0c5aed2352c1,@object ; @__hip_cuid_dbd0c5aed2352c1
	.section	.bss,"aw",@nobits
	.globl	__hip_cuid_dbd0c5aed2352c1
__hip_cuid_dbd0c5aed2352c1:
	.byte	0                               ; 0x0
	.size	__hip_cuid_dbd0c5aed2352c1, 1

	.ident	"AMD clang version 19.0.0git (https://github.com/RadeonOpenCompute/llvm-project roc-6.4.0 25133 c7fe45cf4b819c5991fe208aaa96edf142730f1d)"
	.section	".note.GNU-stack","",@progbits
	.addrsig
	.addrsig_sym __hip_cuid_dbd0c5aed2352c1
	.amdgpu_metadata
---
amdhsa.kernels:
  - .args:
      - .actual_access:  read_only
        .address_space:  global
        .offset:         0
        .size:           8
        .value_kind:     global_buffer
      - .offset:         8
        .size:           8
        .value_kind:     by_value
      - .actual_access:  read_only
        .address_space:  global
        .offset:         16
        .size:           8
        .value_kind:     global_buffer
      - .actual_access:  read_only
        .address_space:  global
        .offset:         24
        .size:           8
        .value_kind:     global_buffer
      - .offset:         32
        .size:           8
        .value_kind:     by_value
      - .actual_access:  read_only
        .address_space:  global
        .offset:         40
        .size:           8
        .value_kind:     global_buffer
      - .actual_access:  read_only
        .address_space:  global
        .offset:         48
        .size:           8
        .value_kind:     global_buffer
      - .offset:         56
        .size:           4
        .value_kind:     by_value
      - .actual_access:  read_only
        .address_space:  global
        .offset:         64
        .size:           8
        .value_kind:     global_buffer
      - .actual_access:  read_only
        .address_space:  global
        .offset:         72
        .size:           8
        .value_kind:     global_buffer
      - .address_space:  global
        .offset:         80
        .size:           8
        .value_kind:     global_buffer
    .group_segment_fixed_size: 0
    .kernarg_segment_align: 8
    .kernarg_segment_size: 88
    .language:       OpenCL C
    .language_version:
      - 2
      - 0
    .max_flat_workgroup_size: 90
    .name:           fft_rtc_fwd_len2250_factors_10_3_5_3_5_wgs_90_tpt_90_halfLds_dp_ip_CI_unitstride_sbrr_R2C_dirReg
    .private_segment_fixed_size: 0
    .sgpr_count:     34
    .sgpr_spill_count: 0
    .symbol:         fft_rtc_fwd_len2250_factors_10_3_5_3_5_wgs_90_tpt_90_halfLds_dp_ip_CI_unitstride_sbrr_R2C_dirReg.kd
    .uniform_work_group_size: 1
    .uses_dynamic_stack: false
    .vgpr_count:     253
    .vgpr_spill_count: 0
    .wavefront_size: 32
    .workgroup_processor_mode: 1
amdhsa.target:   amdgcn-amd-amdhsa--gfx1201
amdhsa.version:
  - 1
  - 2
...

	.end_amdgpu_metadata
